;; amdgpu-corpus repo=ROCm/rocFFT kind=compiled arch=gfx1201 opt=O3
	.text
	.amdgcn_target "amdgcn-amd-amdhsa--gfx1201"
	.amdhsa_code_object_version 6
	.protected	fft_rtc_back_len3240_factors_3_3_10_6_6_wgs_108_tpt_108_halfLds_half_ip_CI_sbrr_dirReg ; -- Begin function fft_rtc_back_len3240_factors_3_3_10_6_6_wgs_108_tpt_108_halfLds_half_ip_CI_sbrr_dirReg
	.globl	fft_rtc_back_len3240_factors_3_3_10_6_6_wgs_108_tpt_108_halfLds_half_ip_CI_sbrr_dirReg
	.p2align	8
	.type	fft_rtc_back_len3240_factors_3_3_10_6_6_wgs_108_tpt_108_halfLds_half_ip_CI_sbrr_dirReg,@function
fft_rtc_back_len3240_factors_3_3_10_6_6_wgs_108_tpt_108_halfLds_half_ip_CI_sbrr_dirReg: ; @fft_rtc_back_len3240_factors_3_3_10_6_6_wgs_108_tpt_108_halfLds_half_ip_CI_sbrr_dirReg
; %bb.0:
	s_clause 0x2
	s_load_b64 s[12:13], s[0:1], 0x18
	s_load_b128 s[4:7], s[0:1], 0x0
	s_load_b64 s[10:11], s[0:1], 0x50
	v_mul_u32_u24_e32 v1, 0x25f, v0
	v_mov_b32_e32 v3, 0
	s_delay_alu instid0(VALU_DEP_2) | instskip(NEXT) | instid1(VALU_DEP_1)
	v_lshrrev_b32_e32 v1, 16, v1
	v_add_nc_u32_e32 v5, ttmp9, v1
	v_mov_b32_e32 v1, 0
	v_mov_b32_e32 v2, 0
	;; [unrolled: 1-line block ×3, first 2 shown]
	s_wait_kmcnt 0x0
	s_load_b64 s[8:9], s[12:13], 0x0
	v_cmp_lt_u64_e64 s2, s[6:7], 2
	s_delay_alu instid0(VALU_DEP_1)
	s_and_b32 vcc_lo, exec_lo, s2
	s_cbranch_vccnz .LBB0_8
; %bb.1:
	s_load_b64 s[2:3], s[0:1], 0x10
	v_mov_b32_e32 v1, 0
	v_mov_b32_e32 v2, 0
	s_add_nc_u64 s[14:15], s[12:13], 8
	s_mov_b64 s[16:17], 1
	s_wait_kmcnt 0x0
	s_add_nc_u64 s[18:19], s[2:3], 8
	s_mov_b32 s3, 0
.LBB0_2:                                ; =>This Inner Loop Header: Depth=1
	s_load_b64 s[20:21], s[18:19], 0x0
                                        ; implicit-def: $vgpr7_vgpr8
	s_mov_b32 s2, exec_lo
	s_wait_kmcnt 0x0
	v_or_b32_e32 v4, s21, v6
	s_delay_alu instid0(VALU_DEP_1)
	v_cmpx_ne_u64_e32 0, v[3:4]
	s_wait_alu 0xfffe
	s_xor_b32 s22, exec_lo, s2
	s_cbranch_execz .LBB0_4
; %bb.3:                                ;   in Loop: Header=BB0_2 Depth=1
	s_cvt_f32_u32 s2, s20
	s_cvt_f32_u32 s23, s21
	s_sub_nc_u64 s[26:27], 0, s[20:21]
	s_wait_alu 0xfffe
	s_delay_alu instid0(SALU_CYCLE_1) | instskip(SKIP_1) | instid1(SALU_CYCLE_2)
	s_fmamk_f32 s2, s23, 0x4f800000, s2
	s_wait_alu 0xfffe
	v_s_rcp_f32 s2, s2
	s_delay_alu instid0(TRANS32_DEP_1) | instskip(SKIP_1) | instid1(SALU_CYCLE_2)
	s_mul_f32 s2, s2, 0x5f7ffffc
	s_wait_alu 0xfffe
	s_mul_f32 s23, s2, 0x2f800000
	s_wait_alu 0xfffe
	s_delay_alu instid0(SALU_CYCLE_2) | instskip(SKIP_1) | instid1(SALU_CYCLE_2)
	s_trunc_f32 s23, s23
	s_wait_alu 0xfffe
	s_fmamk_f32 s2, s23, 0xcf800000, s2
	s_cvt_u32_f32 s25, s23
	s_wait_alu 0xfffe
	s_delay_alu instid0(SALU_CYCLE_1) | instskip(SKIP_1) | instid1(SALU_CYCLE_2)
	s_cvt_u32_f32 s24, s2
	s_wait_alu 0xfffe
	s_mul_u64 s[28:29], s[26:27], s[24:25]
	s_wait_alu 0xfffe
	s_mul_hi_u32 s31, s24, s29
	s_mul_i32 s30, s24, s29
	s_mul_hi_u32 s2, s24, s28
	s_mul_i32 s33, s25, s28
	s_wait_alu 0xfffe
	s_add_nc_u64 s[30:31], s[2:3], s[30:31]
	s_mul_hi_u32 s23, s25, s28
	s_mul_hi_u32 s34, s25, s29
	s_add_co_u32 s2, s30, s33
	s_wait_alu 0xfffe
	s_add_co_ci_u32 s2, s31, s23
	s_mul_i32 s28, s25, s29
	s_add_co_ci_u32 s29, s34, 0
	s_wait_alu 0xfffe
	s_add_nc_u64 s[28:29], s[2:3], s[28:29]
	s_wait_alu 0xfffe
	v_add_co_u32 v4, s2, s24, s28
	s_delay_alu instid0(VALU_DEP_1) | instskip(SKIP_1) | instid1(VALU_DEP_1)
	s_cmp_lg_u32 s2, 0
	s_add_co_ci_u32 s25, s25, s29
	v_readfirstlane_b32 s24, v4
	s_wait_alu 0xfffe
	s_delay_alu instid0(VALU_DEP_1)
	s_mul_u64 s[26:27], s[26:27], s[24:25]
	s_wait_alu 0xfffe
	s_mul_hi_u32 s29, s24, s27
	s_mul_i32 s28, s24, s27
	s_mul_hi_u32 s2, s24, s26
	s_mul_i32 s30, s25, s26
	s_wait_alu 0xfffe
	s_add_nc_u64 s[28:29], s[2:3], s[28:29]
	s_mul_hi_u32 s23, s25, s26
	s_mul_hi_u32 s24, s25, s27
	s_wait_alu 0xfffe
	s_add_co_u32 s2, s28, s30
	s_add_co_ci_u32 s2, s29, s23
	s_mul_i32 s26, s25, s27
	s_add_co_ci_u32 s27, s24, 0
	s_wait_alu 0xfffe
	s_add_nc_u64 s[26:27], s[2:3], s[26:27]
	s_wait_alu 0xfffe
	v_add_co_u32 v4, s2, v4, s26
	s_delay_alu instid0(VALU_DEP_1) | instskip(SKIP_1) | instid1(VALU_DEP_1)
	s_cmp_lg_u32 s2, 0
	s_add_co_ci_u32 s2, s25, s27
	v_mul_hi_u32 v13, v5, v4
	s_wait_alu 0xfffe
	v_mad_co_u64_u32 v[7:8], null, v5, s2, 0
	v_mad_co_u64_u32 v[9:10], null, v6, v4, 0
	;; [unrolled: 1-line block ×3, first 2 shown]
	s_delay_alu instid0(VALU_DEP_3) | instskip(SKIP_1) | instid1(VALU_DEP_4)
	v_add_co_u32 v4, vcc_lo, v13, v7
	s_wait_alu 0xfffd
	v_add_co_ci_u32_e32 v7, vcc_lo, 0, v8, vcc_lo
	s_delay_alu instid0(VALU_DEP_2) | instskip(SKIP_1) | instid1(VALU_DEP_2)
	v_add_co_u32 v4, vcc_lo, v4, v9
	s_wait_alu 0xfffd
	v_add_co_ci_u32_e32 v4, vcc_lo, v7, v10, vcc_lo
	s_wait_alu 0xfffd
	v_add_co_ci_u32_e32 v7, vcc_lo, 0, v12, vcc_lo
	s_delay_alu instid0(VALU_DEP_2) | instskip(SKIP_1) | instid1(VALU_DEP_2)
	v_add_co_u32 v4, vcc_lo, v4, v11
	s_wait_alu 0xfffd
	v_add_co_ci_u32_e32 v9, vcc_lo, 0, v7, vcc_lo
	s_delay_alu instid0(VALU_DEP_2) | instskip(SKIP_1) | instid1(VALU_DEP_3)
	v_mul_lo_u32 v10, s21, v4
	v_mad_co_u64_u32 v[7:8], null, s20, v4, 0
	v_mul_lo_u32 v11, s20, v9
	s_delay_alu instid0(VALU_DEP_2) | instskip(NEXT) | instid1(VALU_DEP_2)
	v_sub_co_u32 v7, vcc_lo, v5, v7
	v_add3_u32 v8, v8, v11, v10
	s_delay_alu instid0(VALU_DEP_1) | instskip(SKIP_1) | instid1(VALU_DEP_1)
	v_sub_nc_u32_e32 v10, v6, v8
	s_wait_alu 0xfffd
	v_subrev_co_ci_u32_e64 v10, s2, s21, v10, vcc_lo
	v_add_co_u32 v11, s2, v4, 2
	s_wait_alu 0xf1ff
	v_add_co_ci_u32_e64 v12, s2, 0, v9, s2
	v_sub_co_u32 v13, s2, v7, s20
	v_sub_co_ci_u32_e32 v8, vcc_lo, v6, v8, vcc_lo
	s_wait_alu 0xf1ff
	v_subrev_co_ci_u32_e64 v10, s2, 0, v10, s2
	s_delay_alu instid0(VALU_DEP_3) | instskip(NEXT) | instid1(VALU_DEP_3)
	v_cmp_le_u32_e32 vcc_lo, s20, v13
	v_cmp_eq_u32_e64 s2, s21, v8
	s_wait_alu 0xfffd
	v_cndmask_b32_e64 v13, 0, -1, vcc_lo
	v_cmp_le_u32_e32 vcc_lo, s21, v10
	s_wait_alu 0xfffd
	v_cndmask_b32_e64 v14, 0, -1, vcc_lo
	v_cmp_le_u32_e32 vcc_lo, s20, v7
	;; [unrolled: 3-line block ×3, first 2 shown]
	s_wait_alu 0xfffd
	v_cndmask_b32_e64 v15, 0, -1, vcc_lo
	v_cmp_eq_u32_e32 vcc_lo, s21, v10
	s_wait_alu 0xf1ff
	s_delay_alu instid0(VALU_DEP_2)
	v_cndmask_b32_e64 v7, v15, v7, s2
	s_wait_alu 0xfffd
	v_cndmask_b32_e32 v10, v14, v13, vcc_lo
	v_add_co_u32 v13, vcc_lo, v4, 1
	s_wait_alu 0xfffd
	v_add_co_ci_u32_e32 v14, vcc_lo, 0, v9, vcc_lo
	s_delay_alu instid0(VALU_DEP_3) | instskip(SKIP_2) | instid1(VALU_DEP_3)
	v_cmp_ne_u32_e32 vcc_lo, 0, v10
	s_wait_alu 0xfffd
	v_cndmask_b32_e32 v10, v13, v11, vcc_lo
	v_cndmask_b32_e32 v8, v14, v12, vcc_lo
	v_cmp_ne_u32_e32 vcc_lo, 0, v7
	s_wait_alu 0xfffd
	s_delay_alu instid0(VALU_DEP_2)
	v_dual_cndmask_b32 v7, v4, v10 :: v_dual_cndmask_b32 v8, v9, v8
.LBB0_4:                                ;   in Loop: Header=BB0_2 Depth=1
	s_wait_alu 0xfffe
	s_and_not1_saveexec_b32 s2, s22
	s_cbranch_execz .LBB0_6
; %bb.5:                                ;   in Loop: Header=BB0_2 Depth=1
	v_cvt_f32_u32_e32 v4, s20
	s_sub_co_i32 s22, 0, s20
	s_delay_alu instid0(VALU_DEP_1) | instskip(NEXT) | instid1(TRANS32_DEP_1)
	v_rcp_iflag_f32_e32 v4, v4
	v_mul_f32_e32 v4, 0x4f7ffffe, v4
	s_delay_alu instid0(VALU_DEP_1) | instskip(SKIP_1) | instid1(VALU_DEP_1)
	v_cvt_u32_f32_e32 v4, v4
	s_wait_alu 0xfffe
	v_mul_lo_u32 v7, s22, v4
	s_delay_alu instid0(VALU_DEP_1) | instskip(NEXT) | instid1(VALU_DEP_1)
	v_mul_hi_u32 v7, v4, v7
	v_add_nc_u32_e32 v4, v4, v7
	s_delay_alu instid0(VALU_DEP_1) | instskip(NEXT) | instid1(VALU_DEP_1)
	v_mul_hi_u32 v4, v5, v4
	v_mul_lo_u32 v7, v4, s20
	v_add_nc_u32_e32 v8, 1, v4
	s_delay_alu instid0(VALU_DEP_2) | instskip(NEXT) | instid1(VALU_DEP_1)
	v_sub_nc_u32_e32 v7, v5, v7
	v_subrev_nc_u32_e32 v9, s20, v7
	v_cmp_le_u32_e32 vcc_lo, s20, v7
	s_wait_alu 0xfffd
	s_delay_alu instid0(VALU_DEP_2) | instskip(NEXT) | instid1(VALU_DEP_1)
	v_dual_cndmask_b32 v7, v7, v9 :: v_dual_cndmask_b32 v4, v4, v8
	v_cmp_le_u32_e32 vcc_lo, s20, v7
	s_delay_alu instid0(VALU_DEP_2) | instskip(SKIP_1) | instid1(VALU_DEP_1)
	v_add_nc_u32_e32 v8, 1, v4
	s_wait_alu 0xfffd
	v_dual_cndmask_b32 v7, v4, v8 :: v_dual_mov_b32 v8, v3
.LBB0_6:                                ;   in Loop: Header=BB0_2 Depth=1
	s_wait_alu 0xfffe
	s_or_b32 exec_lo, exec_lo, s2
	s_load_b64 s[22:23], s[14:15], 0x0
	s_delay_alu instid0(VALU_DEP_1)
	v_mul_lo_u32 v4, v8, s20
	v_mul_lo_u32 v11, v7, s21
	v_mad_co_u64_u32 v[9:10], null, v7, s20, 0
	s_add_nc_u64 s[16:17], s[16:17], 1
	s_add_nc_u64 s[14:15], s[14:15], 8
	s_wait_alu 0xfffe
	v_cmp_ge_u64_e64 s2, s[16:17], s[6:7]
	s_add_nc_u64 s[18:19], s[18:19], 8
	s_delay_alu instid0(VALU_DEP_2) | instskip(NEXT) | instid1(VALU_DEP_3)
	v_add3_u32 v4, v10, v11, v4
	v_sub_co_u32 v5, vcc_lo, v5, v9
	s_wait_alu 0xfffd
	s_delay_alu instid0(VALU_DEP_2) | instskip(SKIP_3) | instid1(VALU_DEP_2)
	v_sub_co_ci_u32_e32 v4, vcc_lo, v6, v4, vcc_lo
	s_and_b32 vcc_lo, exec_lo, s2
	s_wait_kmcnt 0x0
	v_mul_lo_u32 v6, s23, v5
	v_mul_lo_u32 v4, s22, v4
	v_mad_co_u64_u32 v[1:2], null, s22, v5, v[1:2]
	s_delay_alu instid0(VALU_DEP_1)
	v_add3_u32 v2, v6, v2, v4
	s_wait_alu 0xfffe
	s_cbranch_vccnz .LBB0_9
; %bb.7:                                ;   in Loop: Header=BB0_2 Depth=1
	v_dual_mov_b32 v5, v7 :: v_dual_mov_b32 v6, v8
	s_branch .LBB0_2
.LBB0_8:
	v_dual_mov_b32 v8, v6 :: v_dual_mov_b32 v7, v5
.LBB0_9:
	s_lshl_b64 s[2:3], s[6:7], 3
	v_mul_hi_u32 v3, 0x25ed098, v0
	s_wait_alu 0xfffe
	s_add_nc_u64 s[2:3], s[12:13], s[2:3]
	s_load_b64 s[0:1], s[0:1], 0x20
	s_load_b64 s[2:3], s[2:3], 0x0
                                        ; implicit-def: $vgpr31
                                        ; implicit-def: $vgpr32
                                        ; implicit-def: $vgpr33
                                        ; implicit-def: $vgpr34
                                        ; implicit-def: $vgpr64
                                        ; implicit-def: $vgpr58
                                        ; implicit-def: $vgpr55
	s_delay_alu instid0(VALU_DEP_1) | instskip(NEXT) | instid1(VALU_DEP_1)
	v_mul_u32_u24_e32 v3, 0x6c, v3
	v_sub_nc_u32_e32 v28, v0, v3
	s_delay_alu instid0(VALU_DEP_1)
	v_add_nc_u32_e32 v22, 0x6c, v28
	v_add_nc_u32_e32 v16, 0xd8, v28
	;; [unrolled: 1-line block ×4, first 2 shown]
	s_wait_kmcnt 0x0
	v_cmp_gt_u64_e32 vcc_lo, s[0:1], v[7:8]
	v_mul_lo_u32 v3, s2, v8
	v_mul_lo_u32 v4, s3, v7
	v_mad_co_u64_u32 v[0:1], null, s2, v7, v[1:2]
	v_cmp_le_u64_e64 s0, s[0:1], v[7:8]
	v_add_nc_u32_e32 v25, 0x21c, v28
	v_add_nc_u32_e32 v19, 0x288, v28
	;; [unrolled: 1-line block ×5, first 2 shown]
	v_add3_u32 v1, v4, v1, v3
                                        ; implicit-def: $vgpr3
	s_and_saveexec_b32 s1, s0
	s_wait_alu 0xfffe
	s_xor_b32 s0, exec_lo, s1
; %bb.10:
	v_add_nc_u32_e32 v31, 0x6c, v28
	v_add_nc_u32_e32 v32, 0xd8, v28
	v_add_nc_u32_e32 v33, 0x144, v28
	v_add_nc_u32_e32 v34, 0x1b0, v28
	v_add_nc_u32_e32 v64, 0x21c, v28
	v_add_nc_u32_e32 v58, 0x288, v28
	v_add_nc_u32_e32 v55, 0x2f4, v28
	v_add_nc_u32_e32 v3, 0x360, v28
	v_add_nc_u32_e32 v2, 0x3cc, v28
; %bb.11:
	s_wait_alu 0xfffe
	s_or_saveexec_b32 s1, s0
	v_lshlrev_b64_e32 v[4:5], 2, v[0:1]
	v_add_nc_u32_e32 v30, 0x438, v28
	v_add_nc_u32_e32 v27, 0x870, v28
	v_add_nc_u32_e32 v24, 0x4a4, v28
	v_add_nc_u32_e32 v21, 0x8dc, v28
	v_add_nc_u32_e32 v18, 0x510, v28
	v_add_nc_u32_e32 v15, 0x948, v28
	v_add_nc_u32_e32 v12, 0x57c, v28
	v_add_nc_u32_e32 v8, 0x9b4, v28
	v_add_nc_u32_e32 v29, 0x654, v28
	v_add_nc_u32_e32 v26, 0xa8c, v28
	v_add_nc_u32_e32 v23, 0x6c0, v28
	v_add_nc_u32_e32 v20, 0xaf8, v28
	v_add_nc_u32_e32 v17, 0x72c, v28
	v_add_nc_u32_e32 v13, 0xb64, v28
	v_add_nc_u32_e32 v11, 0x798, v28
	v_add_nc_u32_e32 v7, 0xbd0, v28
                                        ; implicit-def: $vgpr63
                                        ; implicit-def: $vgpr61
                                        ; implicit-def: $vgpr75
                                        ; implicit-def: $vgpr60
                                        ; implicit-def: $vgpr47
                                        ; implicit-def: $vgpr46
                                        ; implicit-def: $vgpr76
                                        ; implicit-def: $vgpr71
                                        ; implicit-def: $vgpr79
                                        ; implicit-def: $vgpr74
                                        ; implicit-def: $vgpr48
                                        ; implicit-def: $vgpr51
                                        ; implicit-def: $vgpr80
                                        ; implicit-def: $vgpr57
                                        ; implicit-def: $vgpr81
                                        ; implicit-def: $vgpr59
                                        ; implicit-def: $vgpr49
                                        ; implicit-def: $vgpr42
                                        ; implicit-def: $vgpr82
                                        ; implicit-def: $vgpr68
                                        ; implicit-def: $vgpr83
                                        ; implicit-def: $vgpr73
                                        ; implicit-def: $vgpr50
                                        ; implicit-def: $vgpr43
                                        ; implicit-def: $vgpr84
                                        ; implicit-def: $vgpr77
                                        ; implicit-def: $vgpr85
                                        ; implicit-def: $vgpr78
                                        ; implicit-def: $vgpr66
                                        ; implicit-def: $vgpr38
                                        ; implicit-def: $vgpr86
                                        ; implicit-def: $vgpr52
                                        ; implicit-def: $vgpr87
                                        ; implicit-def: $vgpr53
                                        ; implicit-def: $vgpr67
                                        ; implicit-def: $vgpr39
                                        ; implicit-def: $vgpr88
                                        ; implicit-def: $vgpr54
                                        ; implicit-def: $vgpr89
                                        ; implicit-def: $vgpr56
                                        ; implicit-def: $vgpr65
                                        ; implicit-def: $vgpr37
                                        ; implicit-def: $vgpr90
                                        ; implicit-def: $vgpr62
                                        ; implicit-def: $vgpr91
                                        ; implicit-def: $vgpr36
                                        ; implicit-def: $vgpr69
                                        ; implicit-def: $vgpr0
                                        ; implicit-def: $vgpr92
                                        ; implicit-def: $vgpr40
                                        ; implicit-def: $vgpr93
                                        ; implicit-def: $vgpr41
                                        ; implicit-def: $vgpr70
                                        ; implicit-def: $vgpr1
                                        ; implicit-def: $vgpr94
                                        ; implicit-def: $vgpr44
                                        ; implicit-def: $vgpr95
                                        ; implicit-def: $vgpr45
                                        ; implicit-def: $vgpr72
                                        ; implicit-def: $vgpr35
	s_wait_alu 0xfffe
	s_xor_b32 exec_lo, exec_lo, s1
	s_cbranch_execz .LBB0_13
; %bb.12:
	v_mad_co_u64_u32 v[0:1], null, s8, v28, 0
	v_mad_co_u64_u32 v[32:33], null, s8, v30, 0
	;; [unrolled: 1-line block ×4, first 2 shown]
	s_delay_alu instid0(VALU_DEP_4)
	v_mad_co_u64_u32 v[36:37], null, s9, v28, v[1:2]
	v_mad_co_u64_u32 v[37:38], null, s8, v22, 0
	v_mov_b32_e32 v3, v33
	v_mov_b32_e32 v1, v35
	v_mad_co_u64_u32 v[54:55], null, s8, v10, 0
	v_mad_co_u64_u32 v[63:64], null, s8, v26, 0
	s_delay_alu instid0(VALU_DEP_4) | instskip(NEXT) | instid1(VALU_DEP_4)
	v_mad_co_u64_u32 v[39:40], null, s9, v30, v[3:4]
	v_mad_co_u64_u32 v[40:41], null, s9, v27, v[1:2]
	v_dual_mov_b32 v1, v36 :: v_dual_mov_b32 v36, v38
	v_mad_co_u64_u32 v[41:42], null, s8, v24, 0
	s_delay_alu instid0(VALU_DEP_4) | instskip(SKIP_1) | instid1(VALU_DEP_4)
	v_mov_b32_e32 v33, v39
	v_add_co_u32 v3, s0, s10, v4
	v_mad_co_u64_u32 v[38:39], null, s9, v22, v[36:37]
	v_mov_b32_e32 v35, v40
	v_mad_co_u64_u32 v[39:40], null, s8, v21, 0
	v_mov_b32_e32 v36, v42
	s_wait_alu 0xf1ff
	v_add_co_ci_u32_e64 v31, s0, s11, v5, s0
	v_lshlrev_b64_e32 v[32:33], 2, v[32:33]
	v_lshlrev_b64_e32 v[34:35], 2, v[34:35]
	v_mad_co_u64_u32 v[42:43], null, s9, v24, v[36:37]
	v_mov_b32_e32 v36, v40
	v_lshlrev_b64_e32 v[0:1], 2, v[0:1]
	v_mad_co_u64_u32 v[43:44], null, s8, v16, 0
	v_mad_co_u64_u32 v[67:68], null, s8, v19, 0
	;; [unrolled: 1-line block ×3, first 2 shown]
	s_delay_alu instid0(VALU_DEP_4)
	v_add_co_u32 v0, s0, v3, v0
	s_wait_alu 0xf1ff
	v_add_co_ci_u32_e64 v1, s0, v31, v1, s0
	v_add_co_u32 v32, s0, v3, v32
	s_wait_alu 0xf1ff
	v_add_co_ci_u32_e64 v33, s0, v31, v33, s0
	;; [unrolled: 3-line block ×3, first 2 shown]
	v_lshlrev_b64_e32 v[34:35], 2, v[37:38]
	v_mad_co_u64_u32 v[36:37], null, s9, v21, v[36:37]
	v_mov_b32_e32 v37, v44
	v_mad_co_u64_u32 v[74:75], null, s8, v7, 0
	s_delay_alu instid0(VALU_DEP_4)
	v_add_co_u32 v50, s0, v3, v34
	s_wait_alu 0xf1ff
	v_add_co_ci_u32_e64 v51, s0, v31, v35, s0
	v_lshlrev_b64_e32 v[34:35], 2, v[41:42]
	v_mov_b32_e32 v40, v36
	v_mad_co_u64_u32 v[36:37], null, s9, v16, v[37:38]
	v_mov_b32_e32 v37, v49
	v_mad_co_u64_u32 v[79:80], null, s8, v2, 0
	v_add_co_u32 v41, s0, v3, v34
	s_wait_alu 0xf1ff
	v_add_co_ci_u32_e64 v42, s0, v31, v35, s0
	v_lshlrev_b64_e32 v[34:35], 2, v[39:40]
	v_mad_co_u64_u32 v[37:38], null, s9, v18, v[37:38]
	v_mov_b32_e32 v44, v36
	v_mad_co_u64_u32 v[38:39], null, s8, v15, 0
	s_delay_alu instid0(VALU_DEP_4) | instskip(SKIP_3) | instid1(VALU_DEP_4)
	v_add_co_u32 v52, s0, v3, v34
	s_wait_alu 0xf1ff
	v_add_co_ci_u32_e64 v53, s0, v31, v35, s0
	v_lshlrev_b64_e32 v[34:35], 2, v[43:44]
	v_dual_mov_b32 v49, v37 :: v_dual_mov_b32 v36, v39
	s_delay_alu instid0(VALU_DEP_2) | instskip(SKIP_1) | instid1(VALU_DEP_3)
	v_add_co_u32 v56, s0, v3, v34
	s_wait_alu 0xf1ff
	v_add_co_ci_u32_e64 v57, s0, v31, v35, s0
	s_delay_alu instid0(VALU_DEP_3) | instskip(SKIP_3) | instid1(VALU_DEP_4)
	v_lshlrev_b64_e32 v[34:35], 2, v[48:49]
	v_mad_co_u64_u32 v[36:37], null, s9, v15, v[36:37]
	v_mov_b32_e32 v37, v55
	v_mad_co_u64_u32 v[48:49], null, s8, v12, 0
	v_add_co_u32 v58, s0, v3, v34
	s_wait_alu 0xf1ff
	v_add_co_ci_u32_e64 v59, s0, v31, v35, s0
	v_mad_co_u64_u32 v[34:35], null, s9, v10, v[37:38]
	v_mov_b32_e32 v39, v36
	s_clause 0x7
	global_load_b32 v35, v[0:1], off
	global_load_b32 v45, v[32:33], off
	;; [unrolled: 1-line block ×8, first 2 shown]
	v_mov_b32_e32 v37, v49
	v_mad_co_u64_u32 v[46:47], null, s8, v6, 0
	v_lshlrev_b64_e32 v[32:33], 2, v[38:39]
	v_mov_b32_e32 v55, v34
	s_delay_alu instid0(VALU_DEP_4) | instskip(SKIP_2) | instid1(VALU_DEP_4)
	v_mad_co_u64_u32 v[37:38], null, s9, v12, v[37:38]
	v_mad_co_u64_u32 v[38:39], null, s8, v8, 0
	v_add_nc_u32_e32 v57, 0x5e8, v28
	v_lshlrev_b64_e32 v[42:43], 2, v[54:55]
	v_add_nc_u32_e32 v59, 0xa20, v28
	v_add_co_u32 v32, s0, v3, v32
	v_dual_mov_b32 v49, v37 :: v_dual_mov_b32 v34, v39
	s_wait_alu 0xf1ff
	v_add_co_ci_u32_e64 v33, s0, v31, v33, s0
	v_add_co_u32 v42, s0, v3, v42
	v_mad_co_u64_u32 v[53:54], null, s8, v59, 0
	s_wait_alu 0xf1ff
	v_add_co_ci_u32_e64 v43, s0, v31, v43, s0
	s_wait_loadcnt 0x7
	v_mad_co_u64_u32 v[50:51], null, s9, v8, v[34:35]
	v_mad_co_u64_u32 v[51:52], null, s8, v57, 0
	v_mov_b32_e32 v34, v47
	v_lshlrev_b64_e32 v[47:48], 2, v[48:49]
	s_wait_loadcnt 0x6
	v_lshrrev_b32_e32 v95, 16, v45
	s_wait_loadcnt 0x5
	v_lshrrev_b32_e32 v94, 16, v44
	v_mov_b32_e32 v39, v50
	v_mad_co_u64_u32 v[49:50], null, s9, v6, v[34:35]
	v_mov_b32_e32 v34, v52
	v_add_co_u32 v55, s0, v3, v47
	s_delay_alu instid0(VALU_DEP_4)
	v_lshlrev_b64_e32 v[37:38], 2, v[38:39]
	s_wait_alu 0xf1ff
	v_add_co_ci_u32_e64 v56, s0, v31, v48, s0
	v_mov_b32_e32 v47, v49
	v_mad_co_u64_u32 v[48:49], null, s9, v57, v[34:35]
	v_mov_b32_e32 v34, v54
	v_add_co_u32 v57, s0, v3, v37
	v_mad_co_u64_u32 v[49:50], null, s8, v25, 0
	s_wait_alu 0xf1ff
	v_add_co_ci_u32_e64 v58, s0, v31, v38, s0
	v_lshlrev_b64_e32 v[37:38], 2, v[46:47]
	v_mov_b32_e32 v52, v48
	v_mad_co_u64_u32 v[46:47], null, s9, v59, v[34:35]
	v_mov_b32_e32 v34, v50
	v_mad_co_u64_u32 v[59:60], null, s8, v29, 0
	v_add_co_u32 v47, s0, v3, v37
	s_wait_alu 0xf1ff
	v_add_co_ci_u32_e64 v48, s0, v31, v38, s0
	v_lshlrev_b64_e32 v[37:38], 2, v[51:52]
	v_mov_b32_e32 v54, v46
	v_mad_co_u64_u32 v[50:51], null, s9, v25, v[34:35]
	v_mov_b32_e32 v34, v60
	s_wait_loadcnt 0x3
	v_lshrrev_b32_e32 v93, 16, v41
	v_add_co_u32 v51, s0, v3, v37
	s_wait_alu 0xf1ff
	v_add_co_ci_u32_e64 v52, s0, v31, v38, s0
	v_lshlrev_b64_e32 v[37:38], 2, v[53:54]
	s_wait_loadcnt 0x2
	v_lshrrev_b32_e32 v92, 16, v40
	s_wait_loadcnt 0x0
	v_lshrrev_b32_e32 v91, 16, v36
	s_delay_alu instid0(VALU_DEP_3)
	v_add_co_u32 v65, s0, v3, v37
	s_wait_alu 0xf1ff
	v_add_co_ci_u32_e64 v66, s0, v31, v38, s0
	v_lshlrev_b64_e32 v[37:38], 2, v[49:50]
	v_mad_co_u64_u32 v[49:50], null, s9, v29, v[34:35]
	v_mov_b32_e32 v34, v64
	s_delay_alu instid0(VALU_DEP_3) | instskip(SKIP_1) | instid1(VALU_DEP_4)
	v_add_co_u32 v69, s0, v3, v37
	s_wait_alu 0xf1ff
	v_add_co_ci_u32_e64 v70, s0, v31, v38, s0
	s_delay_alu instid0(VALU_DEP_4)
	v_mov_b32_e32 v60, v49
	v_mad_co_u64_u32 v[49:50], null, s9, v26, v[34:35]
	v_mov_b32_e32 v34, v68
	s_clause 0x7
	global_load_b32 v62, v[32:33], off
	global_load_b32 v37, v[42:43], off
	;; [unrolled: 1-line block ×8, first 2 shown]
	v_mad_co_u64_u32 v[46:47], null, s8, v20, 0
	v_mad_co_u64_u32 v[50:51], null, s8, v14, 0
	;; [unrolled: 1-line block ×3, first 2 shown]
	v_dual_mov_b32 v34, v72 :: v_dual_add_nc_u32 v55, 0x804, v28
	v_lshlrev_b64_e32 v[32:33], 2, v[59:60]
	v_mad_co_u64_u32 v[59:60], null, s8, v17, 0
	v_mad_co_u64_u32 v[65:66], null, s8, v13, 0
	v_mov_b32_e32 v68, v42
	v_mad_co_u64_u32 v[42:43], null, s9, v23, v[34:35]
	v_mov_b32_e32 v34, v47
	v_mad_co_u64_u32 v[69:70], null, s8, v9, 0
	v_add_co_u32 v32, s0, v3, v32
	v_lshlrev_b64_e32 v[57:58], 2, v[67:68]
	v_mov_b32_e32 v72, v42
	v_mad_co_u64_u32 v[42:43], null, s9, v20, v[34:35]
	v_mov_b32_e32 v34, v51
	v_mov_b32_e32 v64, v49
	s_wait_alu 0xf1ff
	v_add_co_ci_u32_e64 v33, s0, v31, v33, s0
	s_delay_alu instid0(VALU_DEP_4)
	v_mov_b32_e32 v47, v42
	v_mad_co_u64_u32 v[42:43], null, s9, v14, v[34:35]
	v_mov_b32_e32 v34, v60
	v_lshlrev_b64_e32 v[48:49], 2, v[63:64]
	v_lshlrev_b64_e32 v[63:64], 2, v[71:72]
	;; [unrolled: 1-line block ×3, first 2 shown]
	v_mov_b32_e32 v51, v42
	v_mad_co_u64_u32 v[42:43], null, s9, v17, v[34:35]
	v_mov_b32_e32 v34, v66
	v_add_co_u32 v48, s0, v3, v48
	s_wait_alu 0xf1ff
	v_add_co_ci_u32_e64 v49, s0, v31, v49, s0
	s_delay_alu instid0(VALU_DEP_3)
	v_mad_co_u64_u32 v[66:67], null, s9, v13, v[34:35]
	v_mov_b32_e32 v60, v42
	v_mov_b32_e32 v34, v70
	v_add_co_u32 v57, s0, v3, v57
	s_wait_alu 0xf1ff
	v_add_co_ci_u32_e64 v58, s0, v31, v58, s0
	v_add_co_u32 v63, s0, v3, v63
	v_lshlrev_b64_e32 v[50:51], 2, v[50:51]
	v_lshlrev_b64_e32 v[42:43], 2, v[59:60]
	v_mad_co_u64_u32 v[60:61], null, s8, v11, 0
	v_mad_co_u64_u32 v[67:68], null, s9, v9, v[34:35]
	s_wait_alu 0xf1ff
	v_add_co_ci_u32_e64 v64, s0, v31, v64, s0
	v_add_co_u32 v46, s0, v3, v46
	s_wait_alu 0xf1ff
	v_add_co_ci_u32_e64 v47, s0, v31, v47, s0
	v_add_co_u32 v50, s0, v3, v50
	v_lshlrev_b64_e32 v[65:66], 2, v[65:66]
	s_wait_alu 0xf1ff
	v_add_co_ci_u32_e64 v51, s0, v31, v51, s0
	v_mov_b32_e32 v34, v61
	v_add_co_u32 v71, s0, v3, v42
	v_mov_b32_e32 v70, v67
	s_wait_alu 0xf1ff
	v_add_co_ci_u32_e64 v72, s0, v31, v43, s0
	v_add_co_u32 v65, s0, v3, v65
	v_mad_co_u64_u32 v[67:68], null, s9, v11, v[34:35]
	s_wait_alu 0xf1ff
	v_add_co_ci_u32_e64 v66, s0, v31, v66, s0
	s_clause 0x7
	global_load_b32 v78, v[32:33], off
	global_load_b32 v77, v[48:49], off
	;; [unrolled: 1-line block ×8, first 2 shown]
	v_lshlrev_b64_e32 v[33:34], 2, v[69:70]
	v_mov_b32_e32 v32, v75
	v_dual_mov_b32 v61, v67 :: v_dual_add_nc_u32 v58, 0xc3c, v28
	v_lshrrev_b32_e32 v72, 16, v35
	s_delay_alu instid0(VALU_DEP_3) | instskip(SKIP_3) | instid1(VALU_DEP_3)
	v_mad_co_u64_u32 v[46:47], null, s9, v7, v[32:33]
	v_mov_b32_e32 v32, v80
	v_mad_co_u64_u32 v[47:48], null, s8, v55, 0
	v_lshlrev_b64_e32 v[60:61], 2, v[60:61]
	v_mad_co_u64_u32 v[49:50], null, s9, v2, v[32:33]
	v_mad_co_u64_u32 v[50:51], null, s8, v58, 0
	v_add_co_u32 v32, s0, v3, v33
	s_wait_alu 0xf1ff
	v_add_co_ci_u32_e64 v33, s0, v31, v34, s0
	v_mov_b32_e32 v34, v48
	v_dual_mov_b32 v80, v49 :: v_dual_mov_b32 v75, v46
	v_add_co_u32 v60, s0, v3, v60
	s_delay_alu instid0(VALU_DEP_3) | instskip(SKIP_1) | instid1(VALU_DEP_4)
	v_mad_co_u64_u32 v[48:49], null, s9, v55, v[34:35]
	v_mov_b32_e32 v34, v51
	v_lshlrev_b64_e32 v[63:64], 2, v[74:75]
	s_wait_alu 0xf1ff
	v_add_co_ci_u32_e64 v61, s0, v31, v61, s0
	v_mov_b32_e32 v55, v14
	v_mad_co_u64_u32 v[65:66], null, s9, v58, v[34:35]
	v_lshlrev_b64_e32 v[66:67], 2, v[79:80]
	v_add_co_u32 v63, s0, v3, v63
	v_lshlrev_b64_e32 v[46:47], 2, v[47:48]
	s_wait_alu 0xf1ff
	v_add_co_ci_u32_e64 v64, s0, v31, v64, s0
	v_mov_b32_e32 v51, v65
	v_add_co_u32 v48, s0, v3, v66
	s_wait_alu 0xf1ff
	v_add_co_ci_u32_e64 v49, s0, v31, v67, s0
	s_delay_alu instid0(VALU_DEP_3) | instskip(SKIP_4) | instid1(VALU_DEP_4)
	v_lshlrev_b64_e32 v[50:51], 2, v[50:51]
	v_add_co_u32 v65, s0, v3, v46
	s_wait_alu 0xf1ff
	v_add_co_ci_u32_e64 v66, s0, v31, v47, s0
	v_mov_b32_e32 v58, v19
	v_add_co_u32 v69, s0, v3, v50
	s_wait_alu 0xf1ff
	v_add_co_ci_u32_e64 v70, s0, v31, v51, s0
	v_mov_b32_e32 v31, v22
	s_clause 0x5
	global_load_b32 v51, v[32:33], off
	global_load_b32 v74, v[60:61], off
	;; [unrolled: 1-line block ×6, first 2 shown]
	v_lshrrev_b32_e32 v70, 16, v1
	v_lshrrev_b32_e32 v69, 16, v0
	v_dual_mov_b32 v3, v9 :: v_dual_mov_b32 v64, v25
	v_dual_mov_b32 v34, v6 :: v_dual_mov_b32 v33, v10
	v_mov_b32_e32 v32, v16
	s_wait_loadcnt 0x15
	v_lshrrev_b32_e32 v90, 16, v62
	s_wait_loadcnt 0x14
	v_lshrrev_b32_e32 v65, 16, v37
	;; [unrolled: 2-line block ×22, first 2 shown]
.LBB0_13:
	s_or_b32 exec_lo, exec_lo, s1
	v_add_f16_e32 v99, v94, v95
	v_add_f16_e32 v96, v44, v45
	;; [unrolled: 1-line block ×3, first 2 shown]
	v_sub_f16_e32 v98, v95, v94
	v_add_f16_e32 v95, v95, v72
	v_sub_f16_e32 v45, v45, v44
	v_fmac_f16_e32 v72, -0.5, v99
	v_add_f16_e32 v44, v44, v97
	v_add_f16_e32 v97, v41, v1
	;; [unrolled: 1-line block ×4, first 2 shown]
	v_fmamk_f16 v99, v45, 0x3aee, v72
	v_fmac_f16_e32 v72, 0xbaee, v45
	v_add_f16_e32 v45, v92, v93
	v_add_f16_e32 v97, v40, v97
	v_fmac_f16_e32 v1, -0.5, v95
	v_sub_f16_e32 v95, v93, v92
	v_add_f16_e32 v93, v93, v70
	v_fmac_f16_e32 v70, -0.5, v45
	v_sub_f16_e32 v40, v41, v40
	v_add_f16_e32 v45, v62, v36
	v_fmac_f16_e32 v35, -0.5, v96
	v_add_f16_e32 v100, v92, v93
	v_add_f16_e32 v92, v36, v0
	v_fmamk_f16 v103, v40, 0x3aee, v70
	v_fmac_f16_e32 v70, 0xbaee, v40
	v_add_f16_e32 v40, v90, v91
	v_fmac_f16_e32 v0, -0.5, v45
	v_sub_f16_e32 v45, v91, v90
	v_add_f16_e32 v91, v91, v69
	v_sub_f16_e32 v36, v36, v62
	v_fmac_f16_e32 v69, -0.5, v40
	v_add_f16_e32 v92, v62, v92
	v_fmamk_f16 v40, v45, 0xbaee, v0
	v_fmac_f16_e32 v0, 0x3aee, v45
	v_add_f16_e32 v45, v54, v56
	v_fmamk_f16 v105, v36, 0x3aee, v69
	v_fmac_f16_e32 v69, 0xbaee, v36
	v_add_f16_e32 v36, v88, v89
	v_add_f16_e32 v62, v56, v37
	v_fmac_f16_e32 v37, -0.5, v45
	v_sub_f16_e32 v45, v89, v88
	v_add_f16_e32 v89, v89, v65
	v_fmac_f16_e32 v65, -0.5, v36
	v_sub_f16_e32 v36, v56, v54
	v_add_f16_e32 v62, v54, v62
	v_fmamk_f16 v54, v45, 0xbaee, v37
	v_fmac_f16_e32 v37, 0x3aee, v45
	v_add_f16_e32 v45, v52, v53
	v_fmamk_f16 v106, v36, 0x3aee, v65
	v_fmac_f16_e32 v65, 0xbaee, v36
	v_add_f16_e32 v36, v86, v87
	v_add_f16_e32 v56, v53, v39
	v_fmac_f16_e32 v39, -0.5, v45
	v_sub_f16_e32 v45, v87, v86
	v_add_f16_e32 v87, v87, v67
	v_fmac_f16_e32 v67, -0.5, v36
	v_sub_f16_e32 v36, v53, v52
	;; [unrolled: 13-line block ×3, first 2 shown]
	v_add_f16_e32 v53, v77, v53
	v_fmamk_f16 v77, v45, 0xbaee, v38
	v_fmac_f16_e32 v38, 0x3aee, v45
	v_add_f16_e32 v45, v68, v73
	v_fmamk_f16 v109, v36, 0x3aee, v66
	v_fmac_f16_e32 v66, 0xbaee, v36
	v_add_f16_e32 v36, v82, v83
	v_add_f16_e32 v78, v84, v85
	;; [unrolled: 1-line block ×3, first 2 shown]
	v_fmac_f16_e32 v43, -0.5, v45
	v_sub_f16_e32 v45, v83, v82
	v_add_f16_e32 v83, v83, v50
	v_fmac_f16_e32 v50, -0.5, v36
	v_sub_f16_e32 v36, v73, v68
	v_add_f16_e32 v84, v68, v84
	v_fmamk_f16 v68, v45, 0xbaee, v43
	v_fmac_f16_e32 v43, 0x3aee, v45
	v_add_f16_e32 v45, v57, v59
	v_fmamk_f16 v110, v36, 0x3aee, v50
	v_fmac_f16_e32 v50, 0xbaee, v36
	v_add_f16_e32 v36, v80, v81
	v_add_f16_e32 v73, v82, v83
	;; [unrolled: 1-line block ×3, first 2 shown]
	v_fmac_f16_e32 v42, -0.5, v45
	v_sub_f16_e32 v45, v81, v80
	v_add_f16_e32 v81, v81, v49
	v_fmac_f16_e32 v49, -0.5, v36
	v_sub_f16_e32 v36, v59, v57
	v_add_f16_e32 v82, v57, v82
	v_fmamk_f16 v57, v45, 0xbaee, v42
	v_fmac_f16_e32 v42, 0x3aee, v45
	v_add_f16_e32 v45, v71, v74
	v_fmamk_f16 v112, v36, 0x3aee, v49
	v_fmac_f16_e32 v49, 0xbaee, v36
	v_add_f16_e32 v36, v76, v79
	v_add_f16_e32 v59, v74, v51
	v_fmac_f16_e32 v51, -0.5, v45
	v_sub_f16_e32 v45, v79, v76
	v_add_f16_e32 v79, v79, v48
	v_fmac_f16_e32 v48, -0.5, v36
	v_sub_f16_e32 v36, v74, v71
	v_add_f16_e32 v59, v71, v59
	v_fmamk_f16 v71, v45, 0xbaee, v51
	v_fmac_f16_e32 v51, 0x3aee, v45
	v_add_f16_e32 v74, v76, v79
	v_add_f16_e32 v45, v61, v60
	v_fmamk_f16 v76, v36, 0x3aee, v48
	v_fmac_f16_e32 v48, 0xbaee, v36
	v_add_f16_e32 v36, v63, v75
	v_mad_u32_u24 v113, v28, 6, 0
	v_fmamk_f16 v96, v98, 0xbaee, v35
	v_fmac_f16_e32 v35, 0x3aee, v98
	v_add_f16_e32 v79, v60, v46
	v_fmac_f16_e32 v46, -0.5, v45
	v_sub_f16_e32 v45, v75, v63
	v_add_f16_e32 v75, v75, v47
	v_fmac_f16_e32 v47, -0.5, v36
	v_sub_f16_e32 v36, v60, v61
	v_mad_i32_i24 v115, v31, 6, 0
	ds_store_b16 v113, v44
	ds_store_b16 v113, v96 offset:2
	ds_store_b16 v113, v35 offset:4
	v_mad_i32_i24 v116, v32, 6, 0
	v_mad_i32_i24 v35, v33, 6, 0
	v_fmamk_f16 v41, v95, 0xbaee, v1
	v_fmac_f16_e32 v1, 0x3aee, v95
	v_fmamk_f16 v114, v36, 0x3aee, v47
	v_fmac_f16_e32 v47, 0xbaee, v36
	ds_store_b16 v115, v97
	ds_store_b16 v115, v41 offset:2
	ds_store_b16 v115, v1 offset:4
	ds_store_b16 v116, v92
	ds_store_b16 v116, v40 offset:2
	ds_store_b16 v116, v0 offset:4
	v_mad_i32_i24 v36, v34, 6, 0
	ds_store_b16 v35, v62
	ds_store_b16 v35, v54 offset:2
	ds_store_b16 v35, v37 offset:4
	v_mad_i32_i24 v37, v64, 6, 0
	v_mad_i32_i24 v117, v58, 6, 0
	v_lshlrev_b32_e32 v0, 2, v58
	ds_store_b16 v36, v56
	ds_store_b16 v36, v52 offset:2
	ds_store_b16 v36, v39 offset:4
	ds_store_b16 v37, v53
	ds_store_b16 v37, v77 offset:2
	ds_store_b16 v37, v38 offset:4
	v_mad_i32_i24 v77, v55, 6, 0
	v_sub_nc_u32_e32 v56, v117, v0
	v_lshlrev_b32_e32 v0, 2, v55
	v_mad_i32_i24 v118, v3, 6, 0
	v_add_f16_e32 v79, v61, v79
	v_fmamk_f16 v60, v45, 0xbaee, v46
	v_fmac_f16_e32 v46, 0x3aee, v45
	ds_store_b16 v117, v84
	ds_store_b16 v117, v68 offset:2
	ds_store_b16 v117, v43 offset:4
	v_mad_i32_i24 v119, v2, 6, 0
	ds_store_b16 v77, v82
	ds_store_b16 v77, v57 offset:2
	ds_store_b16 v77, v42 offset:4
	ds_store_b16 v118, v59
	ds_store_b16 v118, v71 offset:2
	ds_store_b16 v118, v51 offset:4
	;; [unrolled: 3-line block ×3, first 2 shown]
	v_lshlrev_b32_e32 v41, 2, v33
	v_lshlrev_b32_e32 v42, 2, v34
	v_sub_nc_u32_e32 v68, v77, v0
	v_lshlrev_b32_e32 v0, 2, v2
	v_lshlrev_b32_e32 v43, 2, v64
	;; [unrolled: 1-line block ×3, first 2 shown]
	v_sub_nc_u32_e32 v45, v35, v41
	v_lshl_add_u32 v40, v28, 1, 0
	v_sub_nc_u32_e32 v44, v36, v42
	v_sub_nc_u32_e32 v57, v119, v0
	v_and_b32_e32 v0, 0xff, v28
	v_sub_nc_u32_e32 v46, v37, v43
	v_sub_nc_u32_e32 v71, v118, v51
	v_add_f16_e32 v104, v90, v91
	v_add_f16_e32 v88, v88, v89
	;; [unrolled: 1-line block ×5, first 2 shown]
	global_wb scope:SCOPE_SE
	s_wait_dscnt 0x0
	s_barrier_signal -1
	s_barrier_wait -1
	global_inv scope:SCOPE_SE
	v_lshl_add_u32 v38, v32, 1, 0
	v_lshl_add_u32 v39, v31, 1, 0
	ds_load_u16 v1, v45
	ds_load_u16 v92, v40 offset:4752
	ds_load_u16 v90, v40 offset:4968
	;; [unrolled: 1-line block ×3, first 2 shown]
	ds_load_u16 v61, v40
	ds_load_u16 v98, v40 offset:2160
	ds_load_u16 v97, v40 offset:2376
	;; [unrolled: 1-line block ×13, first 2 shown]
	ds_load_u16 v60, v44
	ds_load_u16 v59, v46
	;; [unrolled: 1-line block ×6, first 2 shown]
	ds_load_u16 v101, v40 offset:4536
	ds_load_u16 v102, v40 offset:4320
	;; [unrolled: 1-line block ×3, first 2 shown]
	ds_load_u16 v62, v38
	ds_load_u16 v63, v39
	ds_load_u16 v82, v40 offset:6264
	global_wb scope:SCOPE_SE
	s_wait_dscnt 0x0
	s_barrier_signal -1
	s_barrier_wait -1
	global_inv scope:SCOPE_SE
	ds_store_b16 v113, v94
	ds_store_b16 v113, v99 offset:2
	ds_store_b16 v113, v72 offset:4
	ds_store_b16 v115, v100
	ds_store_b16 v115, v103 offset:2
	ds_store_b16 v115, v70 offset:4
	v_mul_lo_u16 v70, 0xab, v0
	ds_store_b16 v116, v104
	ds_store_b16 v116, v105 offset:2
	ds_store_b16 v116, v69 offset:4
	ds_store_b16 v35, v88
	ds_store_b16 v35, v106 offset:2
	ds_store_b16 v35, v65 offset:4
	;; [unrolled: 3-line block ×6, first 2 shown]
	v_lshrrev_b16 v65, 9, v70
	v_and_b32_e32 v50, 0xff, v31
	ds_store_b16 v118, v74
	ds_store_b16 v118, v76 offset:2
	ds_store_b16 v118, v48 offset:4
	ds_store_b16 v119, v75
	ds_store_b16 v119, v114 offset:2
	ds_store_b16 v119, v47 offset:4
	v_and_b32_e32 v48, 0xffff, v33
	v_mul_lo_u16 v66, v65, 3
	v_mul_lo_u16 v67, 0xab, v50
	global_wb scope:SCOPE_SE
	s_wait_dscnt 0x0
	s_barrier_signal -1
	s_barrier_wait -1
	v_sub_nc_u16 v49, v28, v66
	v_lshrrev_b16 v67, 9, v67
	global_inv scope:SCOPE_SE
	v_and_b32_e32 v77, 0xffff, v64
	v_and_b32_e32 v88, 0xffff, v58
	;; [unrolled: 1-line block ×4, first 2 shown]
	v_mul_lo_u16 v47, v67, 3
	v_and_b32_e32 v99, 0xffff, v3
	v_and_b32_e32 v65, 0xffff, v65
	v_lshlrev_b32_e32 v70, 3, v66
	v_mul_u32_u24_e32 v69, 0xaaab, v49
	v_sub_nc_u16 v47, v31, v47
	v_mul_u32_u24_e32 v99, 0xaaab, v99
	v_and_b32_e32 v67, 0xffff, v67
	global_load_b64 v[103:104], v70, s[4:5]
	v_lshrrev_b32_e32 v69, 17, v69
	v_and_b32_e32 v72, 0xff, v47
	v_and_b32_e32 v47, 0xffff, v34
	v_lshlrev_b32_e32 v66, 1, v66
	v_mul_u32_u24_e32 v65, 18, v65
	v_mul_lo_u16 v73, v69, 3
	v_lshlrev_b32_e32 v74, 3, v72
	v_mul_u32_u24_e32 v76, 0xaaab, v47
	v_lshlrev_b32_e32 v72, 1, v72
	v_mul_u32_u24_e32 v67, 18, v67
	v_sub_nc_u16 v73, v32, v73
	global_load_b64 v[105:106], v74, s[4:5]
	v_mul_lo_u16 v0, v0, 57
	v_cmp_gt_u32_e64 s0, 0x5a, v28
	v_mul_u32_u24_e32 v47, 0x2d83, v47
	v_and_b32_e32 v73, 0xffff, v73
	s_delay_alu instid0(VALU_DEP_2) | instskip(NEXT) | instid1(VALU_DEP_2)
	v_lshrrev_b32_e32 v47, 20, v47
	v_lshlrev_b32_e32 v78, 3, v73
	global_load_b64 v[107:108], v78, s[4:5]
	v_mul_u32_u24_e32 v70, 0xaaab, v48
	v_lshrrev_b32_e32 v74, 17, v76
	v_mul_u32_u24_e32 v48, 0x2d83, v48
	s_delay_alu instid0(VALU_DEP_3) | instskip(NEXT) | instid1(VALU_DEP_2)
	v_lshrrev_b32_e32 v70, 17, v70
	v_lshrrev_b32_e32 v48, 20, v48
	s_delay_alu instid0(VALU_DEP_2) | instskip(NEXT) | instid1(VALU_DEP_1)
	v_mul_lo_u16 v75, v70, 3
	v_sub_nc_u16 v75, v33, v75
	s_delay_alu instid0(VALU_DEP_1) | instskip(SKIP_2) | instid1(VALU_DEP_3)
	v_and_b32_e32 v76, 0xffff, v75
	v_mul_u32_u24_e32 v75, 0xaaab, v77
	v_mul_lo_u16 v77, v74, 3
	v_lshlrev_b32_e32 v78, 3, v76
	s_delay_alu instid0(VALU_DEP_3) | instskip(NEXT) | instid1(VALU_DEP_3)
	v_lshrrev_b32_e32 v75, 17, v75
	v_sub_nc_u16 v77, v34, v77
	global_load_b64 v[109:110], v78, s[4:5]
	v_mul_lo_u16 v78, v75, 3
	v_and_b32_e32 v77, 0xffff, v77
	s_delay_alu instid0(VALU_DEP_2) | instskip(NEXT) | instid1(VALU_DEP_2)
	v_sub_nc_u16 v64, v64, v78
	v_lshlrev_b32_e32 v78, 3, v77
	s_delay_alu instid0(VALU_DEP_2)
	v_and_b32_e32 v64, 0xffff, v64
	global_load_b64 v[111:112], v78, s[4:5]
	v_lshlrev_b32_e32 v94, 3, v64
	global_load_b64 v[113:114], v94, s[4:5]
	v_mul_u32_u24_e32 v78, 0xaaab, v88
	v_and_b32_e32 v88, 0xffff, v55
	s_delay_alu instid0(VALU_DEP_2) | instskip(NEXT) | instid1(VALU_DEP_2)
	v_lshrrev_b32_e32 v78, 17, v78
	v_mul_u32_u24_e32 v88, 0xaaab, v88
	s_delay_alu instid0(VALU_DEP_2) | instskip(NEXT) | instid1(VALU_DEP_2)
	v_mul_lo_u16 v94, v78, 3
	v_lshrrev_b32_e32 v88, 17, v88
	s_delay_alu instid0(VALU_DEP_2) | instskip(NEXT) | instid1(VALU_DEP_2)
	v_sub_nc_u16 v58, v58, v94
	v_mul_lo_u16 v100, v88, 3
	s_delay_alu instid0(VALU_DEP_2) | instskip(SKIP_2) | instid1(VALU_DEP_4)
	v_and_b32_e32 v94, 0xffff, v58
	v_lshrrev_b32_e32 v58, 17, v99
	v_and_b32_e32 v99, 0xffff, v2
	v_sub_nc_u16 v55, v55, v100
	s_delay_alu instid0(VALU_DEP_4) | instskip(NEXT) | instid1(VALU_DEP_4)
	v_lshlrev_b32_e32 v100, 3, v94
	v_mul_lo_u16 v117, v58, 3
	s_delay_alu instid0(VALU_DEP_4) | instskip(NEXT) | instid1(VALU_DEP_4)
	v_mul_u32_u24_e32 v99, 0xaaab, v99
	v_and_b32_e32 v55, 0xffff, v55
	v_mul_u32_u24_e32 v58, 18, v58
	global_load_b64 v[115:116], v100, s[4:5]
	v_sub_nc_u16 v100, v3, v117
	v_lshrrev_b32_e32 v3, 17, v99
	v_lshlrev_b32_e32 v117, 3, v55
	v_lshlrev_b32_e32 v55, 1, v55
	s_delay_alu instid0(VALU_DEP_4) | instskip(NEXT) | instid1(VALU_DEP_4)
	v_and_b32_e32 v99, 0xffff, v100
	v_mul_lo_u16 v100, v3, 3
	global_load_b64 v[117:118], v117, s[4:5]
	v_mul_u32_u24_e32 v3, 18, v3
	v_lshlrev_b32_e32 v119, 3, v99
	v_sub_nc_u16 v2, v2, v100
	global_load_b64 v[119:120], v119, s[4:5]
	v_and_b32_e32 v100, 0xffff, v2
	s_delay_alu instid0(VALU_DEP_1)
	v_lshlrev_b32_e32 v2, 3, v100
	global_load_b64 v[121:122], v2, s[4:5]
	ds_load_u16 v123, v40 offset:2160
	ds_load_u16 v124, v40 offset:4320
	ds_load_u16 v125, v40 offset:4536
	ds_load_u16 v127, v40 offset:2376
	ds_load_u16 v129, v40 offset:2592
	ds_load_u16 v130, v40 offset:2808
	ds_load_u16 v131, v40 offset:3024
	ds_load_u16 v132, v40 offset:3240
	ds_load_u16 v133, v40 offset:3456
	ds_load_u16 v2, v40
	ds_load_u16 v135, v40 offset:4752
	ds_load_u16 v136, v40 offset:4968
	;; [unrolled: 1-line block ×4, first 2 shown]
	s_wait_loadcnt 0x9
	v_lshrrev_b32_e32 v126, 16, v103
	v_lshrrev_b32_e32 v128, 16, v104
	s_wait_dscnt 0xd
	s_delay_alu instid0(VALU_DEP_2)
	v_mul_f16_e64 v134, v123, v126
	v_mul_f16_e32 v126, v98, v126
	s_wait_dscnt 0xc
	v_mul_f16_e64 v139, v124, v128
	v_mul_f16_e64 v128, v102, v128
	v_fmac_f16_e64 v134, v98, v103
	v_fma_f16 v98, v123, v103, -v126
	s_wait_loadcnt 0x8
	v_lshrrev_b32_e32 v140, 16, v105
	v_lshrrev_b32_e32 v103, 16, v106
	v_fmac_f16_e64 v139, v102, v104
	v_fma_f16 v102, v124, v104, -v128
	ds_load_u16 v126, v40 offset:5616
	s_wait_dscnt 0xb
	v_mul_f16_e64 v123, v127, v140
	v_mul_f16_e64 v104, v97, v140
	v_mul_f16_e32 v124, v125, v103
	v_mul_f16_e32 v103, v101, v103
	s_delay_alu instid0(VALU_DEP_4) | instskip(NEXT) | instid1(VALU_DEP_4)
	v_fmac_f16_e32 v123, v97, v105
	v_fma_f16 v104, v127, v105, -v104
	s_delay_alu instid0(VALU_DEP_4) | instskip(NEXT) | instid1(VALU_DEP_4)
	v_fmac_f16_e32 v124, v101, v106
	v_fma_f16 v103, v125, v106, -v103
	s_wait_loadcnt 0x7
	v_lshrrev_b32_e32 v97, 16, v107
	v_lshrrev_b32_e32 v105, 16, v108
	s_wait_dscnt 0xa
	s_delay_alu instid0(VALU_DEP_2) | instskip(SKIP_3) | instid1(VALU_DEP_3)
	v_mul_f16_e64 v101, v129, v97
	v_mul_f16_e32 v97, v96, v97
	s_wait_dscnt 0x4
	v_mul_f16_e64 v106, v135, v105
	v_fmac_f16_e32 v101, v96, v107
	s_delay_alu instid0(VALU_DEP_3) | instskip(SKIP_1) | instid1(VALU_DEP_4)
	v_fma_f16 v96, v129, v107, -v97
	v_mul_f16_e32 v97, v92, v105
	v_fmac_f16_e32 v106, v92, v108
	s_delay_alu instid0(VALU_DEP_2) | instskip(SKIP_3) | instid1(VALU_DEP_2)
	v_fma_f16 v97, v135, v108, -v97
	s_wait_loadcnt 0x6
	v_lshrrev_b32_e32 v125, 16, v109
	v_lshrrev_b32_e32 v105, 16, v110
	v_mul_f16_e64 v107, v130, v125
	v_mul_f16_e32 v92, v95, v125
	s_wait_dscnt 0x3
	s_delay_alu instid0(VALU_DEP_3) | instskip(NEXT) | instid1(VALU_DEP_3)
	v_mul_f16_e64 v108, v136, v105
	v_fmac_f16_e32 v107, v95, v109
	s_delay_alu instid0(VALU_DEP_3)
	v_fma_f16 v95, v130, v109, -v92
	s_wait_loadcnt 0x5
	v_lshrrev_b32_e32 v125, 16, v111
	v_mul_f16_e32 v92, v90, v105
	v_fmac_f16_e32 v108, v90, v110
	v_lshrrev_b32_e32 v109, 16, v112
	s_delay_alu instid0(VALU_DEP_4)
	v_mul_f16_e64 v105, v131, v125
	v_mul_f16_e32 v90, v93, v125
	ds_load_u16 v125, v40 offset:5400
	v_fma_f16 v110, v136, v110, -v92
	s_wait_loadcnt 0x4
	v_lshrrev_b32_e32 v92, 16, v113
	v_fmac_f16_e32 v105, v93, v111
	v_fma_f16 v93, v131, v111, -v90
	s_wait_dscnt 0x3
	v_mul_f16_e64 v111, v137, v109
	v_mul_f16_e32 v90, v89, v109
	v_mul_f16_e64 v109, v132, v92
	v_mul_f16_e32 v92, v91, v92
	v_lshrrev_b32_e32 v127, 16, v114
	v_fmac_f16_e32 v111, v89, v112
	v_fma_f16 v112, v137, v112, -v90
	v_fmac_f16_e32 v109, v91, v113
	v_fma_f16 v91, v132, v113, -v92
	ds_load_u16 v113, v40 offset:3672
	ds_load_u16 v89, v45
	ds_load_u16 v128, v40 offset:5832
	ds_load_u16 v129, v40 offset:6048
	;; [unrolled: 1-line block ×3, first 2 shown]
	ds_load_u16 v90, v38
	ds_load_u16 v92, v39
	ds_load_u16 v136, v40 offset:3888
	s_wait_dscnt 0x8
	v_mul_f16_e64 v131, v125, v127
	v_mul_f16_e32 v127, v87, v127
	s_delay_alu instid0(VALU_DEP_2) | instskip(NEXT) | instid1(VALU_DEP_2)
	v_fmac_f16_e64 v131, v87, v114
	v_fma_f16 v114, v125, v114, -v127
	s_wait_loadcnt 0x3
	v_lshrrev_b32_e32 v132, 16, v115
	v_lshrrev_b32_e32 v135, 16, v116
	s_delay_alu instid0(VALU_DEP_2) | instskip(SKIP_1) | instid1(VALU_DEP_3)
	v_mul_f16_e64 v87, v133, v132
	v_mul_f16_e64 v125, v85, v132
	;; [unrolled: 1-line block ×3, first 2 shown]
	s_wait_loadcnt 0x2
	v_lshrrev_b32_e32 v132, 16, v117
	v_fmac_f16_e32 v87, v85, v115
	v_mul_f16_e64 v85, v86, v135
	v_fma_f16 v115, v133, v115, -v125
	v_fmac_f16_e32 v127, v86, v116
	s_wait_dscnt 0x7
	v_mul_f16_e64 v86, v113, v132
	v_lshrrev_b32_e32 v125, 16, v118
	v_fma_f16 v85, v126, v116, -v85
	v_mul_f16_e64 v116, v83, v132
	s_wait_loadcnt 0x1
	v_lshrrev_b32_e32 v126, 16, v119
	v_fmac_f16_e32 v86, v83, v117
	s_wait_dscnt 0x5
	v_mul_f16_e64 v132, v128, v125
	v_mul_f16_e32 v83, v84, v125
	v_fma_f16 v113, v113, v117, -v116
	s_wait_dscnt 0x0
	v_mul_f16_e64 v116, v136, v126
	v_lshrrev_b32_e32 v117, 16, v120
	v_fmac_f16_e64 v132, v84, v118
	v_mul_f16_e32 v84, v80, v126
	v_fma_f16 v118, v128, v118, -v83
	v_fmac_f16_e32 v116, v80, v119
	s_wait_loadcnt 0x0
	v_lshrrev_b32_e32 v80, 16, v121
	v_mul_f16_e64 v125, v129, v117
	v_fma_f16 v84, v136, v119, -v84
	v_lshrrev_b32_e32 v83, 16, v122
	v_mul_f16_e32 v117, v79, v117
	v_mul_f16_e64 v119, v138, v80
	v_fmac_f16_e32 v125, v79, v120
	v_mul_f16_e32 v79, v81, v80
	v_mul_f16_e64 v126, v130, v83
	v_mul_f16_e32 v80, v82, v83
	v_fmac_f16_e32 v119, v81, v121
	v_fma_f16 v117, v129, v120, -v117
	v_fma_f16 v81, v138, v121, -v79
	v_add_f16_e64 v79, v134, v139
	v_fmac_f16_e32 v126, v82, v122
	v_fma_f16 v120, v130, v122, -v80
	v_add_f16_e32 v80, v98, v102
	v_add_f16_e64 v82, v61, v134
	v_fmac_f16_e32 v61, -0.5, v79
	v_sub_f16_e32 v79, v98, v102
	v_add_f16_e32 v83, v2, v98
	v_fmac_f16_e32 v2, -0.5, v80
	v_add_f16_e64 v98, v82, v139
	v_sub_f16_e64 v82, v134, v139
	v_fmamk_f16 v121, v79, 0xbaee, v61
	v_fmac_f16_e32 v61, 0x3aee, v79
	v_add_f16_e32 v79, v83, v102
	v_add_f16_e32 v83, v123, v124
	v_fmamk_f16 v80, v82, 0x3aee, v2
	v_fmac_f16_e32 v2, 0xbaee, v82
	v_add_f16_e32 v82, v104, v103
	v_add_f16_e32 v102, v63, v123
	v_fmac_f16_e32 v63, -0.5, v83
	v_sub_f16_e32 v83, v104, v103
	v_add_f16_e32 v104, v92, v104
	v_fmac_f16_e32 v92, -0.5, v82
	v_sub_f16_e32 v122, v123, v124
	v_add_f16_e32 v102, v102, v124
	v_fmamk_f16 v123, v83, 0xbaee, v63
	v_add_f16_e32 v82, v104, v103
	v_add_f16_e32 v103, v101, v106
	v_fmac_f16_e32 v63, 0x3aee, v83
	v_fmamk_f16 v83, v122, 0x3aee, v92
	v_fmac_f16_e32 v92, 0xbaee, v122
	v_add_f16_e32 v104, v96, v97
	v_add_f16_e32 v122, v62, v101
	v_fmac_f16_e32 v62, -0.5, v103
	v_sub_f16_e32 v103, v96, v97
	v_add_f16_e32 v96, v90, v96
	v_fmac_f16_e32 v90, -0.5, v104
	v_sub_f16_e32 v101, v101, v106
	ds_load_u16 v124, v44
	v_add_f16_e32 v104, v122, v106
	v_add_f16_e32 v96, v96, v97
	;; [unrolled: 1-line block ×3, first 2 shown]
	v_fmamk_f16 v106, v103, 0xbaee, v62
	v_fmac_f16_e32 v62, 0x3aee, v103
	v_fmamk_f16 v103, v101, 0x3aee, v90
	v_fmac_f16_e32 v90, 0xbaee, v101
	v_add_f16_e32 v101, v1, v107
	v_add_f16_e32 v122, v95, v110
	v_fmac_f16_e32 v1, -0.5, v97
	v_sub_f16_e32 v97, v95, v110
	v_add_f16_e32 v95, v89, v95
	v_add_f16_e32 v101, v101, v108
	v_fmac_f16_e32 v89, -0.5, v122
	ds_load_u16 v122, v46
	v_sub_f16_e32 v107, v107, v108
	v_fmamk_f16 v108, v97, 0xbaee, v1
	v_fmac_f16_e32 v1, 0x3aee, v97
	v_add_f16_e32 v97, v105, v111
	v_add_f16_e32 v95, v95, v110
	v_fmamk_f16 v110, v107, 0x3aee, v89
	v_fmac_f16_e32 v89, 0xbaee, v107
	v_add_f16_e32 v107, v60, v105
	v_fmac_f16_e32 v60, -0.5, v97
	v_add_f16_e32 v97, v93, v112
	ds_load_u16 v128, v71
	ds_load_u16 v129, v57
	;; [unrolled: 1-line block ×4, first 2 shown]
	v_sub_f16_e32 v68, v93, v112
	s_wait_dscnt 0x5
	v_add_f16_e32 v71, v124, v93
	v_add_f16_e32 v93, v107, v111
	v_fmac_f16_e32 v124, -0.5, v97
	v_sub_f16_e32 v97, v105, v111
	v_fmamk_f16 v105, v68, 0xbaee, v60
	v_fmac_f16_e32 v60, 0x3aee, v68
	v_add_f16_e64 v68, v109, v131
	v_add_f16_e32 v107, v71, v112
	v_fmamk_f16 v111, v97, 0x3aee, v124
	v_fmac_f16_e32 v124, 0xbaee, v97
	v_add_f16_e32 v71, v91, v114
	v_add_f16_e32 v97, v59, v109
	v_fmac_f16_e32 v59, -0.5, v68
	v_sub_f16_e32 v68, v91, v114
	s_wait_dscnt 0x4
	v_add_f16_e32 v91, v122, v91
	v_fmac_f16_e32 v122, -0.5, v71
	v_add_f16_e64 v71, v97, v131
	v_sub_f16_e64 v97, v109, v131
	v_fmamk_f16 v109, v68, 0xbaee, v59
	v_fmac_f16_e32 v59, 0x3aee, v68
	v_add_f16_e32 v68, v87, v127
	v_add_f16_e32 v112, v91, v114
	v_fmamk_f16 v114, v97, 0x3aee, v122
	v_fmac_f16_e32 v122, 0xbaee, v97
	v_add_f16_e32 v91, v115, v85
	v_add_f16_e32 v97, v54, v87
	v_fmac_f16_e32 v54, -0.5, v68
	v_sub_f16_e32 v68, v115, v85
	s_wait_dscnt 0x0
	v_add_f16_e64 v115, v133, v115
	v_fmac_f16_e64 v133, -0.5, v91
	v_add_f16_e32 v91, v97, v127
	v_sub_f16_e32 v87, v87, v127
	v_fmamk_f16 v97, v68, 0xbaee, v54
	v_fmac_f16_e32 v54, 0x3aee, v68
	v_add_f16_e32 v115, v115, v85
	v_add_f16_e64 v68, v86, v132
	v_add_f16_e32 v85, v113, v118
	v_fma_f16 v127, 0x3aee, v87, v133
	v_fmac_f16_e64 v133, 0xbaee, v87
	v_add_f16_e32 v87, v53, v86
	v_fmac_f16_e32 v53, -0.5, v68
	v_sub_f16_e32 v68, v113, v118
	v_add_f16_e64 v113, v130, v113
	v_fmac_f16_e64 v130, -0.5, v85
	v_sub_f16_e64 v86, v86, v132
	v_add_f16_e64 v85, v87, v132
	v_fmamk_f16 v87, v68, 0xbaee, v53
	v_fmac_f16_e32 v53, 0x3aee, v68
	v_add_f16_e32 v113, v113, v118
	v_add_f16_e32 v68, v116, v125
	v_fma_f16 v118, 0x3aee, v86, v130
	v_fmac_f16_e64 v130, 0xbaee, v86
	v_add_f16_e32 v86, v84, v117
	v_add_f16_e64 v131, v52, v116
	v_fmac_f16_e32 v52, -0.5, v68
	v_sub_f16_e32 v68, v84, v117
	v_add_f16_e64 v84, v128, v84
	v_fmac_f16_e64 v128, -0.5, v86
	v_sub_f16_e32 v116, v116, v125
	v_add_f16_e64 v86, v131, v125
	v_fmamk_f16 v125, v68, 0xbaee, v52
	v_fmac_f16_e32 v52, 0x3aee, v68
	v_add_f16_e32 v117, v84, v117
	v_add_f16_e32 v68, v119, v126
	v_fma_f16 v131, 0x3aee, v116, v128
	v_fmac_f16_e64 v128, 0xbaee, v116
	v_add_f16_e32 v84, v81, v120
	v_add_f16_e32 v116, v51, v119
	v_fmac_f16_e32 v51, -0.5, v68
	v_add_f16_e64 v68, v129, v81
	v_add3_u32 v132, 0, v67, v72
	v_fmac_f16_e64 v129, -0.5, v84
	v_add_f16_e32 v84, v116, v126
	v_sub_f16_e32 v116, v119, v126
	global_wb scope:SCOPE_SE
	s_barrier_signal -1
	s_barrier_wait -1
	global_inv scope:SCOPE_SE
	v_fma_f16 v126, 0x3aee, v116, v129
	v_fmac_f16_e64 v129, 0xbaee, v116
	v_add3_u32 v116, 0, v65, v66
	v_lshlrev_b32_e32 v65, 1, v73
	v_mul_u32_u24_e32 v66, 18, v69
	ds_store_b16 v116, v98
	ds_store_b16 v116, v121 offset:6
	ds_store_b16 v116, v61 offset:12
	v_lshlrev_b32_e32 v61, 1, v76
	v_mul_u32_u24_e32 v67, 18, v70
	v_add3_u32 v76, 0, v66, v65
	v_mul_u32_u24_e32 v65, 18, v74
	ds_store_b16 v132, v102
	ds_store_b16 v132, v123 offset:6
	ds_store_b16 v132, v63 offset:12
	ds_store_b16 v76, v104
	ds_store_b16 v76, v106 offset:6
	ds_store_b16 v76, v62 offset:12
	v_add3_u32 v98, 0, v67, v61
	v_lshlrev_b32_e32 v61, 1, v77
	v_mul_u32_u24_e32 v62, 18, v75
	v_lshlrev_b32_e32 v63, 1, v64
	v_lshlrev_b32_e32 v64, 1, v94
	ds_store_b16 v98, v101
	ds_store_b16 v98, v108 offset:6
	ds_store_b16 v98, v1 offset:12
	v_add3_u32 v75, 0, v65, v61
	v_mul_u32_u24_e32 v61, 18, v78
	ds_store_b16 v75, v93
	ds_store_b16 v75, v105 offset:6
	ds_store_b16 v75, v60 offset:12
	v_mul_u32_u24_e32 v60, 18, v88
	v_lshlrev_b32_e32 v66, 1, v99
	v_add3_u32 v1, 0, v62, v63
	v_add3_u32 v93, 0, v61, v64
	v_sub_f16_e32 v81, v81, v120
	v_lshlrev_b32_e32 v67, 1, v100
	v_add3_u32 v55, 0, v60, v55
	ds_store_b16 v1, v71
	ds_store_b16 v1, v109 offset:6
	ds_store_b16 v1, v59 offset:12
	ds_store_b16 v93, v91
	ds_store_b16 v93, v97 offset:6
	ds_store_b16 v93, v54 offset:12
	v_add3_u32 v54, 0, v58, v66
	v_fmamk_f16 v119, v81, 0xbaee, v51
	v_fmac_f16_e32 v51, 0x3aee, v81
	v_add3_u32 v3, 0, v3, v67
	ds_store_b16 v55, v85
	ds_store_b16 v55, v87 offset:6
	ds_store_b16 v55, v53 offset:12
	ds_store_b16 v54, v86
	ds_store_b16 v54, v125 offset:6
	ds_store_b16 v54, v52 offset:12
	;; [unrolled: 3-line block ×3, first 2 shown]
	v_lshrrev_b16 v52, 9, v0
	v_add_f16_e32 v120, v68, v120
	global_wb scope:SCOPE_SE
	s_wait_dscnt 0x0
	s_barrier_signal -1
	s_barrier_wait -1
	v_mul_lo_u16 v0, v52, 9
	global_inv scope:SCOPE_SE
	ds_load_u16 v99, v57
	ds_load_u16 v61, v40
	ds_load_u16 v71, v40 offset:864
	ds_load_u16 v69, v40 offset:2808
	ds_load_u16 v74, v40 offset:4536
	ds_load_u16 v63, v40 offset:4752
	ds_load_u16 v104, v40 offset:2592
	ds_load_u16 v64, v40 offset:2376
	ds_load_u16 v84, v40 offset:2160
	ds_load_u16 v66, v40 offset:1728
	ds_load_u16 v87, v40 offset:1512
	ds_load_u16 v67, v40 offset:1080
	ds_load_u16 v65, v40 offset:4320
	ds_load_u16 v85, v40 offset:4104
	ds_load_u16 v81, v40 offset:3888
	ds_load_u16 v70, v40 offset:3672
	ds_load_u16 v86, v40 offset:3456
	ds_load_u16 v97, v40 offset:3240
	ds_load_u16 v68, v40 offset:3024
	ds_load_u16 v77, v40 offset:6048
	ds_load_u16 v78, v40 offset:5832
	ds_load_u16 v72, v40 offset:5616
	ds_load_u16 v91, v40 offset:5400
	ds_load_u16 v88, v40 offset:5184
	ds_load_u16 v73, v40 offset:4968
	ds_load_u16 v105, v56
	ds_load_u16 v106, v45
	;; [unrolled: 1-line block ×4, first 2 shown]
	ds_load_u16 v62, v40 offset:6264
	global_wb scope:SCOPE_SE
	s_wait_dscnt 0x0
	s_barrier_signal -1
	v_sub_nc_u16 v0, v28, v0
	s_barrier_wait -1
	global_inv scope:SCOPE_SE
	ds_store_b16 v116, v79
	ds_store_b16 v116, v80 offset:6
	ds_store_b16 v116, v2 offset:12
	ds_store_b16 v132, v82
	ds_store_b16 v132, v83 offset:6
	ds_store_b16 v132, v92 offset:12
	;; [unrolled: 3-line block ×4, first 2 shown]
	v_and_b32_e32 v53, 0xff, v0
	ds_store_b16 v75, v107
	ds_store_b16 v75, v111 offset:6
	ds_store_b16 v75, v124 offset:12
	ds_store_b16 v1, v112
	ds_store_b16 v1, v114 offset:6
	ds_store_b16 v1, v122 offset:12
	;; [unrolled: 3-line block ×6, first 2 shown]
	global_wb scope:SCOPE_SE
	s_wait_dscnt 0x0
	v_mul_u32_u24_e32 v0, 9, v53
	s_barrier_signal -1
	s_barrier_wait -1
	global_inv scope:SCOPE_SE
	v_mul_u32_u24_e32 v58, 0xe38f, v49
	v_lshlrev_b32_e32 v75, 2, v0
	v_mul_lo_u16 v0, v50, 57
	v_mul_lo_u16 v50, 0xb7, v50
	v_mul_u32_u24_e32 v49, 0x2d83, v49
	v_lshrrev_b32_e32 v58, 19, v58
	s_clause 0x1
	global_load_b128 v[93:96], v75, s[4:5] offset:24
	global_load_b128 v[100:103], v75, s[4:5] offset:40
	v_lshrrev_b16 v55, 9, v0
	v_lshrrev_b32_e32 v49, 20, v49
	v_mul_lo_u16 v59, v58, 9
	s_delay_alu instid0(VALU_DEP_3) | instskip(NEXT) | instid1(VALU_DEP_2)
	v_mul_lo_u16 v0, v55, 9
	v_sub_nc_u16 v59, v32, v59
	s_delay_alu instid0(VALU_DEP_2) | instskip(NEXT) | instid1(VALU_DEP_2)
	v_sub_nc_u16 v0, v31, v0
	v_and_b32_e32 v59, 0xffff, v59
	s_delay_alu instid0(VALU_DEP_2) | instskip(NEXT) | instid1(VALU_DEP_2)
	v_and_b32_e32 v54, 0xff, v0
	v_mul_u32_u24_e32 v79, 9, v59
	s_delay_alu instid0(VALU_DEP_2) | instskip(NEXT) | instid1(VALU_DEP_2)
	v_mul_u32_u24_e32 v0, 9, v54
	v_lshlrev_b32_e32 v79, 2, v79
	s_delay_alu instid0(VALU_DEP_2)
	v_lshlrev_b32_e32 v76, 2, v0
	s_clause 0x6
	global_load_b128 v[0:3], v76, s[4:5] offset:24
	global_load_b128 v[114:117], v76, s[4:5] offset:40
	;; [unrolled: 1-line block ×4, first 2 shown]
	global_load_b32 v126, v75, s[4:5] offset:56
	global_load_b32 v83, v76, s[4:5] offset:56
	;; [unrolled: 1-line block ×3, first 2 shown]
	ds_load_u16 v76, v45
	ds_load_u16 v80, v56
	;; [unrolled: 1-line block ×3, first 2 shown]
	ds_load_u16 v89, v40 offset:864
	ds_load_u16 v107, v40 offset:1512
	;; [unrolled: 1-line block ×6, first 2 shown]
	ds_load_u16 v56, v38
	ds_load_u16 v82, v40 offset:2592
	ds_load_u16 v128, v40 offset:2376
	ds_load_u16 v129, v40 offset:4320
	s_wait_loadcnt 0x8
	v_lshrrev_b32_e32 v79, 16, v93
	v_lshrrev_b32_e32 v110, 16, v94
	;; [unrolled: 1-line block ×4, first 2 shown]
	s_wait_dscnt 0xc
	v_mul_f16_e32 v75, v76, v79
	v_mul_f16_e32 v79, v106, v79
	s_wait_dscnt 0xb
	v_mul_f16_e32 v92, v80, v110
	s_delay_alu instid0(VALU_DEP_3) | instskip(NEXT) | instid1(VALU_DEP_3)
	v_fmac_f16_e32 v75, v106, v93
	v_fma_f16 v76, v76, v93, -v79
	v_mul_f16_e32 v93, v105, v110
	ds_load_u16 v110, v40 offset:4104
	ds_load_u16 v106, v40 offset:3888
	;; [unrolled: 1-line block ×3, first 2 shown]
	v_fmac_f16_e32 v92, v105, v94
	v_mul_f16_e32 v105, v99, v111
	s_wait_dscnt 0xd
	v_mul_f16_e32 v79, v57, v111
	v_fma_f16 v93, v80, v94, -v93
	s_wait_dscnt 0x5
	v_mul_f16_e32 v94, v82, v112
	ds_load_u16 v131, v40 offset:3024
	v_fma_f16 v80, v57, v95, -v105
	v_mul_f16_e32 v57, v104, v112
	v_fmac_f16_e32 v79, v99, v95
	v_fmac_f16_e32 v94, v104, v96
	ds_load_u16 v104, v40 offset:5184
	ds_load_u16 v132, v40 offset:5400
	;; [unrolled: 1-line block ×3, first 2 shown]
	s_wait_loadcnt 0x7
	v_lshrrev_b32_e32 v99, 16, v100
	v_fma_f16 v95, v82, v96, -v57
	v_lshrrev_b32_e32 v57, 16, v101
	v_lshrrev_b32_e32 v105, 16, v102
	ds_load_u16 v96, v40 offset:6048
	ds_load_u16 v134, v40 offset:5832
	;; [unrolled: 1-line block ×3, first 2 shown]
	v_mul_f16_e32 v82, v98, v99
	v_mul_f16_e32 v111, v97, v99
	s_wait_dscnt 0x8
	v_mul_f16_e32 v112, v106, v57
	v_mul_f16_e32 v57, v81, v57
	;; [unrolled: 1-line block ×3, first 2 shown]
	v_fmac_f16_e32 v82, v97, v100
	v_fma_f16 v97, v98, v100, -v111
	v_lshrrev_b32_e32 v98, 16, v103
	v_fmac_f16_e32 v112, v81, v101
	v_fma_f16 v100, v106, v101, -v57
	v_mul_f16_e32 v57, v74, v105
	ds_load_u16 v101, v40 offset:2160
	ds_load_u16 v106, v40 offset:2808
	s_wait_dscnt 0x7
	v_mul_f16_e32 v113, v104, v98
	v_mul_f16_e32 v81, v88, v98
	v_fma_f16 v98, v108, v102, -v57
	s_wait_loadcnt 0x6
	v_lshrrev_b32_e32 v57, 16, v0
	v_fmac_f16_e32 v99, v74, v102
	v_fmac_f16_e32 v113, v88, v103
	v_lshrrev_b32_e32 v88, 16, v1
	v_fma_f16 v137, v104, v103, -v81
	v_mul_f16_e32 v74, v89, v57
	v_mul_f16_e32 v57, v71, v57
	v_lshrrev_b32_e32 v103, 16, v2
	v_mul_f16_e32 v104, v107, v88
	ds_load_u16 v102, v40 offset:1728
	v_fmac_f16_e32 v74, v71, v0
	v_lshrrev_b32_e32 v71, 16, v3
	v_fma_f16 v81, v89, v0, -v57
	v_mul_f16_e32 v0, v87, v88
	ds_load_u16 v136, v40 offset:1080
	ds_load_u16 v111, v40
	v_fmac_f16_e32 v104, v87, v1
	s_wait_dscnt 0x4
	v_mul_f16_e32 v87, v101, v103
	v_mul_f16_e32 v57, v84, v103
	v_fma_f16 v103, v107, v1, -v0
	s_wait_loadcnt 0x5
	v_lshrrev_b32_e32 v0, 16, v114
	v_mul_f16_e32 v1, v69, v71
	s_wait_dscnt 0x3
	v_mul_f16_e32 v105, v106, v71
	v_fmac_f16_e32 v87, v84, v2
	v_fma_f16 v84, v101, v2, -v57
	v_lshrrev_b32_e32 v2, 16, v115
	v_mul_f16_e32 v88, v109, v0
	v_mul_f16_e32 v0, v86, v0
	v_fma_f16 v106, v106, v3, -v1
	v_lshrrev_b32_e32 v1, 16, v116
	v_fmac_f16_e32 v105, v69, v3
	v_mul_f16_e32 v108, v110, v2
	v_fmac_f16_e32 v88, v86, v114
	v_fma_f16 v86, v109, v114, -v0
	v_mul_f16_e32 v0, v85, v2
	v_lshrrev_b32_e32 v2, 16, v117
	v_mul_f16_e32 v89, v127, v1
	v_mul_f16_e32 v1, v63, v1
	s_wait_loadcnt 0x4
	v_lshrrev_b32_e32 v3, 16, v118
	v_fmac_f16_e32 v108, v85, v115
	v_fma_f16 v107, v110, v115, -v0
	v_mul_f16_e64 v110, v132, v2
	v_fma_f16 v85, v127, v116, -v1
	v_mul_f16_e32 v1, v91, v2
	s_wait_dscnt 0x1
	v_mul_f16_e64 v0, v136, v3
	v_lshrrev_b32_e32 v2, 16, v119
	v_mul_f16_e32 v3, v67, v3
	v_lshrrev_b32_e32 v57, 16, v120
	v_fmac_f16_e32 v89, v63, v116
	v_fma_f16 v109, v132, v117, -v1
	v_fmac_f16_e32 v0, v67, v118
	v_mul_f16_e32 v67, v102, v2
	v_fma_f16 v1, v136, v118, -v3
	v_mul_f16_e32 v2, v66, v2
	v_lshrrev_b32_e32 v3, 16, v121
	v_mul_f16_e64 v63, v128, v57
	v_mul_f16_e32 v57, v64, v57
	v_fmac_f16_e32 v67, v66, v119
	v_fma_f16 v66, v102, v119, -v2
	v_mul_f16_e64 v69, v131, v3
	v_mul_f16_e32 v3, v68, v3
	s_wait_loadcnt 0x3
	v_lshrrev_b32_e32 v71, 16, v122
	v_fma_f16 v2, v128, v120, -v57
	v_lshrrev_b32_e32 v57, 16, v123
	v_fmac_f16_e32 v110, v91, v117
	v_fmac_f16_e32 v63, v64, v120
	;; [unrolled: 1-line block ×3, first 2 shown]
	v_fma_f16 v68, v131, v121, -v3
	v_mul_f16_e64 v64, v130, v71
	v_mul_f16_e32 v3, v70, v71
	v_mul_f16_e64 v71, v129, v57
	v_lshrrev_b32_e32 v91, 16, v124
	ds_load_u16 v114, v40 offset:6264
	ds_load_u16 v119, v39
	v_mul_f16_e32 v101, v65, v57
	v_fma_f16 v57, v130, v122, -v3
	v_fmac_f16_e32 v71, v65, v123
	v_mul_f16_e64 v65, v135, v91
	v_lshrrev_b32_e32 v3, 16, v125
	v_fmac_f16_e32 v64, v70, v122
	v_fma_f16 v70, v129, v123, -v101
	v_mul_f16_e32 v91, v73, v91
	v_fmac_f16_e32 v65, v73, v124
	s_wait_loadcnt 0x2
	v_lshrrev_b32_e32 v101, 16, v126
	v_mul_f16_e64 v73, v133, v3
	v_mul_f16_e32 v102, v72, v3
	v_fma_f16 v3, v135, v124, -v91
	s_wait_loadcnt 0x1
	v_lshrrev_b32_e32 v91, 16, v83
	v_mul_f16_e64 v115, v134, v101
	v_fmac_f16_e32 v73, v72, v125
	v_fma_f16 v72, v133, v125, -v102
	v_mul_f16_e32 v102, v78, v101
	s_wait_loadcnt 0x0
	v_lshrrev_b32_e32 v116, 16, v90
	v_mul_f16_e32 v101, v96, v91
	v_fmac_f16_e32 v115, v78, v126
	v_add_f16_e32 v78, v94, v112
	v_fma_f16 v117, v134, v126, -v102
	s_wait_dscnt 0x1
	v_mul_f16_e32 v102, v114, v116
	v_fmac_f16_e32 v101, v77, v83
	v_mul_f16_e32 v77, v77, v91
	v_fma_f16 v118, -0.5, v78, v61
	v_sub_f16_e64 v78, v93, v137
	v_mul_f16_e32 v91, v62, v116
	v_fmac_f16_e32 v102, v62, v90
	v_add_f16_e32 v62, v92, v113
	v_fma_f16 v116, v96, v83, -v77
	v_fmamk_f16 v77, v78, 0xbb9c, v118
	v_sub_f16_e32 v83, v95, v100
	v_sub_f16_e32 v96, v92, v94
	;; [unrolled: 1-line block ×3, first 2 shown]
	v_fmac_f16_e32 v118, 0x3b9c, v78
	v_fma_f16 v91, v114, v90, -v91
	v_add_f16_e32 v90, v61, v92
	v_fmac_f16_e32 v61, -0.5, v62
	v_fmac_f16_e32 v77, 0xb8b4, v83
	v_add_f16_e32 v96, v96, v120
	v_fmac_f16_e32 v118, 0x38b4, v83
	v_sub_f16_e32 v62, v94, v92
	v_sub_f16_e32 v114, v112, v113
	v_fmamk_f16 v120, v83, 0x3b9c, v61
	v_fmac_f16_e32 v61, 0xbb9c, v83
	v_add_f16_e32 v83, v111, v93
	v_add_f16_e32 v90, v90, v94
	;; [unrolled: 1-line block ×3, first 2 shown]
	v_fmac_f16_e32 v120, 0xb8b4, v78
	v_fmac_f16_e32 v61, 0x38b4, v78
	v_add_f16_e32 v78, v83, v95
	v_add_f16_e32 v83, v95, v100
	;; [unrolled: 1-line block ×3, first 2 shown]
	v_fmac_f16_e32 v120, 0x34f2, v62
	v_fmac_f16_e32 v61, 0x34f2, v62
	v_add_f16_e32 v62, v78, v100
	v_fma_f16 v83, -0.5, v83, v111
	v_sub_f16_e32 v78, v92, v113
	v_add_f16_e64 v92, v93, v137
	v_fmac_f16_e32 v77, 0x34f2, v96
	v_fmac_f16_e32 v118, 0x34f2, v96
	v_add_f16_e32 v96, v90, v113
	v_add_f16_e64 v113, v62, v137
	v_sub_f16_e32 v62, v94, v112
	v_fmamk_f16 v112, v78, 0x3b9c, v83
	v_fmac_f16_e32 v111, -0.5, v92
	v_sub_f16_e32 v90, v93, v95
	v_sub_f16_e32 v92, v95, v93
	v_sub_f16_e64 v93, v137, v100
	v_fmac_f16_e32 v83, 0xbb9c, v78
	v_fmamk_f16 v114, v62, 0xbb9c, v111
	v_sub_f16_e64 v94, v100, v137
	v_fmac_f16_e32 v112, 0x38b4, v62
	v_add_f16_e32 v90, v90, v93
	v_fmac_f16_e32 v83, 0xb8b4, v62
	v_fmac_f16_e32 v111, 0x3b9c, v62
	v_add_f16_e32 v62, v82, v99
	v_fmac_f16_e32 v114, 0x38b4, v78
	v_add_f16_e32 v92, v92, v94
	v_fmac_f16_e32 v112, 0x34f2, v90
	v_fmac_f16_e32 v83, 0x34f2, v90
	;; [unrolled: 1-line block ×3, first 2 shown]
	v_fma_f16 v62, -0.5, v62, v75
	v_sub_f16_e32 v78, v80, v117
	v_sub_f16_e32 v90, v79, v82
	v_sub_f16_e32 v93, v115, v99
	v_add_f16_e32 v94, v79, v115
	v_add_f16_e32 v100, v75, v79
	v_fmac_f16_e32 v114, 0x34f2, v92
	v_fmac_f16_e32 v111, 0x34f2, v92
	v_fmamk_f16 v95, v78, 0xbb9c, v62
	v_sub_f16_e32 v92, v97, v98
	v_add_f16_e32 v90, v90, v93
	v_fmac_f16_e32 v75, -0.5, v94
	v_fmac_f16_e32 v62, 0x3b9c, v78
	v_add_f16_e32 v93, v100, v82
	v_fmac_f16_e32 v95, 0xb8b4, v92
	v_sub_f16_e32 v94, v82, v79
	v_fmamk_f16 v121, v92, 0x3b9c, v75
	v_fmac_f16_e32 v75, 0xbb9c, v92
	v_add_f16_e32 v93, v93, v99
	v_fmac_f16_e32 v62, 0x38b4, v92
	v_sub_f16_e32 v100, v99, v115
	v_fmac_f16_e32 v121, 0xb8b4, v78
	v_fmac_f16_e32 v75, 0x38b4, v78
	v_add_f16_e32 v78, v93, v115
	v_fmac_f16_e32 v95, 0x34f2, v90
	v_fmac_f16_e32 v62, 0x34f2, v90
	v_add_f16_e32 v90, v97, v98
	v_add_f16_e32 v93, v80, v117
	;; [unrolled: 1-line block ×3, first 2 shown]
	v_sub_f16_e32 v79, v79, v115
	v_sub_f16_e32 v82, v82, v99
	v_fma_f16 v94, -0.5, v90, v76
	v_add_f16_e32 v99, v76, v80
	v_fmac_f16_e32 v76, -0.5, v93
	v_fmac_f16_e32 v121, 0x34f2, v92
	v_fmac_f16_e32 v75, 0x34f2, v92
	v_sub_f16_e32 v92, v80, v97
	v_sub_f16_e32 v90, v117, v98
	v_fmamk_f16 v93, v79, 0x3b9c, v94
	v_sub_f16_e32 v80, v97, v80
	v_sub_f16_e32 v100, v98, v117
	v_fmamk_f16 v115, v82, 0xbb9c, v76
	v_fmac_f16_e32 v94, 0xbb9c, v79
	v_add_f16_e32 v90, v92, v90
	v_fmac_f16_e32 v76, 0x3b9c, v82
	v_add_f16_e32 v80, v80, v100
	v_fmac_f16_e32 v115, 0x38b4, v79
	v_fmac_f16_e32 v94, 0xb8b4, v82
	;; [unrolled: 1-line block ×4, first 2 shown]
	v_add_f16_e32 v92, v99, v97
	v_fmac_f16_e32 v115, 0x34f2, v80
	v_fmac_f16_e32 v94, 0x34f2, v90
	;; [unrolled: 1-line block ×4, first 2 shown]
	v_add_f16_e32 v92, v92, v98
	v_mul_f16_e32 v79, 0xbb9c, v115
	v_mul_f16_e32 v100, 0xb8b4, v94
	;; [unrolled: 1-line block ×6, first 2 shown]
	v_fmac_f16_e32 v100, 0xba79, v62
	v_fmac_f16_e32 v115, 0x3b9c, v121
	v_add_f16_e32 v117, v92, v117
	v_fmac_f16_e32 v82, 0x3a79, v95
	v_add_f16_e32 v90, v96, v78
	v_fmac_f16_e32 v79, 0x34f2, v121
	v_mul_f16_e32 v80, 0xbb9c, v76
	v_fmac_f16_e32 v122, 0x38b4, v95
	v_mul_f16_e32 v124, 0xba79, v94
	v_fmac_f16_e32 v123, 0x3b9c, v75
	v_add_f16_e32 v95, v118, v100
	v_sub_f16_e32 v96, v96, v78
	v_add_f16_e32 v78, v114, v115
	v_sub_f16_e32 v100, v118, v100
	;; [unrolled: 2-line block ×3, first 2 shown]
	v_add_f16_e32 v115, v104, v110
	v_add_f16_e32 v92, v77, v82
	;; [unrolled: 1-line block ×3, first 2 shown]
	v_fmac_f16_e32 v80, 0xb4f2, v75
	v_fmac_f16_e32 v124, 0x38b4, v62
	v_add_f16_e32 v62, v113, v117
	v_sub_f16_e32 v97, v77, v82
	v_sub_f16_e32 v98, v120, v79
	v_add_f16_e32 v79, v111, v123
	v_sub_f16_e32 v82, v113, v117
	v_sub_f16_e32 v77, v111, v123
	v_fma_f16 v111, -0.5, v118, v60
	v_sub_f16_e32 v113, v104, v105
	v_sub_f16_e32 v114, v110, v108
	;; [unrolled: 1-line block ×3, first 2 shown]
	v_add_f16_e32 v120, v60, v104
	v_fmac_f16_e32 v60, -0.5, v115
	v_add_f16_e32 v94, v61, v80
	v_add_f16_e32 v75, v112, v122
	v_sub_f16_e32 v99, v61, v80
	v_sub_f16_e32 v61, v112, v122
	;; [unrolled: 1-line block ×3, first 2 shown]
	v_add_f16_e32 v113, v113, v114
	v_sub_f16_e32 v114, v105, v104
	v_sub_f16_e32 v115, v108, v110
	v_fmamk_f16 v121, v118, 0x3b9c, v60
	v_fmac_f16_e32 v60, 0xbb9c, v118
	v_fmamk_f16 v117, v112, 0xbb9c, v111
	v_fmac_f16_e32 v111, 0x3b9c, v112
	v_add_f16_e32 v120, v120, v105
	v_add_f16_e32 v114, v114, v115
	v_fmac_f16_e32 v121, 0xb8b4, v112
	v_fmac_f16_e32 v60, 0x38b4, v112
	;; [unrolled: 1-line block ×4, first 2 shown]
	v_add_f16_e32 v115, v120, v108
	s_wait_dscnt 0x0
	v_add_f16_e32 v112, v119, v103
	v_fmac_f16_e32 v121, 0x34f2, v114
	v_fmac_f16_e32 v60, 0x34f2, v114
	v_add_f16_e32 v114, v106, v107
	v_add_f16_e32 v118, v103, v109
	v_fmac_f16_e32 v117, 0x34f2, v113
	v_fmac_f16_e32 v111, 0x34f2, v113
	v_add_f16_e32 v113, v115, v110
	v_add_f16_e32 v112, v112, v106
	v_sub_f16_e32 v104, v104, v110
	v_sub_f16_e32 v110, v103, v106
	;; [unrolled: 1-line block ×4, first 2 shown]
	v_fma_f16 v114, -0.5, v114, v119
	v_fmac_f16_e32 v119, -0.5, v118
	v_add_f16_e32 v112, v112, v107
	v_add_f16_e32 v108, v110, v115
	v_sub_f16_e32 v103, v106, v103
	v_sub_f16_e32 v106, v107, v109
	v_fmamk_f16 v115, v105, 0xbb9c, v119
	v_fmac_f16_e32 v119, 0x3b9c, v105
	v_add_f16_e32 v110, v112, v109
	v_fmamk_f16 v112, v104, 0x3b9c, v114
	v_fmac_f16_e32 v114, 0xbb9c, v104
	v_fmac_f16_e32 v115, 0x38b4, v104
	v_add_f16_e32 v103, v103, v106
	v_fmac_f16_e32 v119, 0xb8b4, v104
	v_fmac_f16_e32 v112, 0x38b4, v105
	;; [unrolled: 1-line block ×3, first 2 shown]
	v_add_f16_e32 v105, v88, v89
	v_fmac_f16_e32 v115, 0x34f2, v103
	v_fmac_f16_e32 v119, 0x34f2, v103
	v_sub_f16_e32 v103, v87, v88
	v_sub_f16_e32 v106, v101, v89
	v_add_f16_e32 v107, v87, v101
	v_fma_f16 v104, -0.5, v105, v74
	v_sub_f16_e32 v105, v84, v116
	v_sub_f16_e32 v109, v86, v85
	v_add_f16_e32 v103, v103, v106
	v_add_f16_e32 v106, v74, v87
	v_fmac_f16_e32 v74, -0.5, v107
	v_fmac_f16_e32 v112, 0x34f2, v108
	v_fmac_f16_e32 v114, 0x34f2, v108
	v_fmamk_f16 v108, v105, 0xbb9c, v104
	v_fmac_f16_e32 v104, 0x3b9c, v105
	v_sub_f16_e32 v107, v88, v87
	v_add_f16_e32 v106, v106, v88
	v_sub_f16_e32 v118, v89, v101
	v_fmamk_f16 v120, v109, 0x3b9c, v74
	v_fmac_f16_e32 v74, 0xbb9c, v109
	v_fmac_f16_e32 v108, 0xb8b4, v109
	;; [unrolled: 1-line block ×3, first 2 shown]
	v_add_f16_e32 v106, v106, v89
	v_add_f16_e32 v107, v107, v118
	v_fmac_f16_e32 v120, 0xb8b4, v105
	v_fmac_f16_e32 v74, 0x38b4, v105
	v_add_f16_e32 v105, v86, v85
	v_sub_f16_e32 v88, v88, v89
	v_add_f16_e32 v89, v84, v116
	v_fmac_f16_e32 v108, 0x34f2, v103
	v_fmac_f16_e32 v104, 0x34f2, v103
	v_add_f16_e32 v103, v106, v101
	v_fmac_f16_e32 v120, 0x34f2, v107
	v_fmac_f16_e32 v74, 0x34f2, v107
	v_sub_f16_e32 v87, v87, v101
	v_sub_f16_e32 v101, v84, v86
	v_fma_f16 v105, -0.5, v105, v81
	v_sub_f16_e32 v106, v116, v85
	v_add_f16_e32 v107, v81, v84
	v_fmac_f16_e32 v81, -0.5, v89
	v_sub_f16_e32 v84, v86, v84
	v_fmamk_f16 v109, v87, 0x3b9c, v105
	v_add_f16_e32 v101, v101, v106
	v_fmac_f16_e32 v105, 0xbb9c, v87
	v_add_f16_e32 v89, v107, v86
	v_fmamk_f16 v86, v88, 0xbb9c, v81
	v_sub_f16_e32 v106, v85, v116
	v_fmac_f16_e32 v109, 0x38b4, v88
	v_fmac_f16_e32 v105, 0xb8b4, v88
	;; [unrolled: 1-line block ×4, first 2 shown]
	v_add_f16_e32 v84, v84, v106
	v_fmac_f16_e32 v109, 0x34f2, v101
	v_fmac_f16_e32 v105, 0x34f2, v101
	;; [unrolled: 1-line block ×3, first 2 shown]
	v_add_f16_e32 v85, v89, v85
	v_fmac_f16_e32 v86, 0x34f2, v84
	v_mul_f16_e32 v88, 0xb8b4, v109
	v_mul_f16_e32 v107, 0xb8b4, v105
	v_fmac_f16_e32 v81, 0x34f2, v84
	v_add_f16_e32 v85, v85, v116
	v_mul_f16_e32 v89, 0xbb9c, v86
	v_mul_f16_e32 v86, 0x34f2, v86
	v_fmac_f16_e32 v88, 0x3a79, v108
	v_mul_f16_e32 v84, 0x3a79, v109
	v_mul_f16_e32 v106, 0xbb9c, v81
	;; [unrolled: 1-line block ×3, first 2 shown]
	v_fmac_f16_e32 v107, 0xba79, v104
	v_mul_f16_e32 v118, 0xba79, v105
	v_fmac_f16_e32 v86, 0x3b9c, v120
	v_add_f16_e32 v116, v117, v88
	v_fmac_f16_e32 v84, 0x38b4, v108
	v_fmac_f16_e32 v81, 0x3b9c, v74
	;; [unrolled: 1-line block ×3, first 2 shown]
	v_add_f16_e32 v122, v111, v107
	v_add_f16_e32 v101, v110, v85
	v_sub_f16_e32 v88, v117, v88
	v_add_f16_e32 v104, v115, v86
	v_sub_f16_e32 v117, v111, v107
	;; [unrolled: 2-line block ×3, first 2 shown]
	v_sub_f16_e32 v109, v115, v86
	v_sub_f16_e32 v85, v67, v69
	;; [unrolled: 1-line block ×3, first 2 shown]
	v_add_f16_e32 v87, v113, v103
	v_fmac_f16_e32 v106, 0xb4f2, v74
	v_sub_f16_e32 v113, v113, v103
	v_add_f16_e32 v103, v112, v84
	v_add_f16_e32 v105, v119, v81
	v_sub_f16_e32 v108, v112, v84
	v_sub_f16_e32 v110, v119, v81
	v_fma_f16 v81, -0.5, v111, v51
	v_sub_f16_e32 v84, v66, v72
	v_add_f16_e32 v112, v67, v73
	v_add_f16_e32 v85, v85, v86
	;; [unrolled: 1-line block ×4, first 2 shown]
	v_sub_f16_e32 v60, v60, v106
	v_add_f16_e32 v106, v114, v118
	v_sub_f16_e32 v111, v114, v118
	v_fmamk_f16 v114, v84, 0xbb9c, v81
	v_sub_f16_e32 v115, v68, v70
	v_fmac_f16_e32 v81, 0x3b9c, v84
	v_fmac_f16_e32 v51, -0.5, v112
	v_add_f16_e32 v86, v86, v69
	v_sub_f16_e32 v112, v69, v67
	v_fmac_f16_e32 v114, 0xb8b4, v115
	v_fmac_f16_e32 v81, 0x38b4, v115
	v_fmamk_f16 v119, v115, 0x3b9c, v51
	v_fmac_f16_e32 v51, 0xbb9c, v115
	v_add_f16_e32 v86, v86, v71
	v_sub_f16_e32 v118, v71, v73
	v_fmac_f16_e32 v114, 0x34f2, v85
	v_fmac_f16_e32 v119, 0xb8b4, v84
	;; [unrolled: 1-line block ×4, first 2 shown]
	v_add_f16_e32 v84, v56, v66
	v_add_f16_e32 v85, v86, v73
	;; [unrolled: 1-line block ×6, first 2 shown]
	v_sub_f16_e32 v69, v69, v71
	v_fma_f16 v71, -0.5, v86, v56
	v_fmac_f16_e32 v56, -0.5, v115
	v_fmac_f16_e32 v119, 0x34f2, v112
	v_fmac_f16_e32 v51, 0x34f2, v112
	v_sub_f16_e32 v67, v67, v73
	v_sub_f16_e32 v73, v66, v68
	;; [unrolled: 1-line block ×3, first 2 shown]
	v_add_f16_e32 v84, v84, v70
	v_sub_f16_e32 v66, v68, v66
	v_fmamk_f16 v86, v69, 0xbb9c, v56
	v_sub_f16_e32 v70, v70, v72
	v_fmac_f16_e32 v56, 0x3b9c, v69
	v_fmamk_f16 v68, v67, 0x3b9c, v71
	v_fmac_f16_e32 v71, 0xbb9c, v67
	v_fmac_f16_e32 v86, 0x38b4, v67
	v_add_f16_e32 v66, v66, v70
	v_fmac_f16_e32 v56, 0xb8b4, v67
	v_add_f16_e32 v84, v84, v72
	v_fmac_f16_e32 v68, 0x38b4, v69
	v_fmac_f16_e32 v71, 0xb8b4, v69
	v_add_f16_e32 v69, v64, v65
	v_fmac_f16_e32 v86, 0x34f2, v66
	v_fmac_f16_e32 v56, 0x34f2, v66
	v_sub_f16_e32 v66, v63, v64
	v_sub_f16_e32 v70, v102, v65
	v_add_f16_e32 v72, v63, v102
	v_add_f16_e32 v73, v73, v112
	v_fma_f16 v67, -0.5, v69, v0
	v_sub_f16_e32 v69, v2, v91
	v_sub_f16_e32 v112, v57, v3
	v_add_f16_e32 v66, v66, v70
	v_add_f16_e32 v70, v0, v63
	v_fmac_f16_e32 v0, -0.5, v72
	v_fmac_f16_e32 v68, 0x34f2, v73
	v_fmac_f16_e32 v71, 0x34f2, v73
	v_fmamk_f16 v73, v69, 0xbb9c, v67
	v_fmac_f16_e32 v67, 0x3b9c, v69
	v_sub_f16_e32 v72, v64, v63
	v_add_f16_e32 v70, v70, v64
	v_sub_f16_e32 v115, v65, v102
	v_fmamk_f16 v118, v112, 0x3b9c, v0
	v_fmac_f16_e32 v0, 0xbb9c, v112
	v_fmac_f16_e32 v73, 0xb8b4, v112
	;; [unrolled: 1-line block ×3, first 2 shown]
	v_add_f16_e32 v70, v70, v65
	v_add_f16_e32 v72, v72, v115
	v_fmac_f16_e32 v118, 0xb8b4, v69
	v_fmac_f16_e32 v0, 0x38b4, v69
	v_add_f16_e32 v69, v57, v3
	v_sub_f16_e32 v64, v64, v65
	v_add_f16_e32 v65, v2, v91
	v_fmac_f16_e32 v73, 0x34f2, v66
	v_fmac_f16_e32 v67, 0x34f2, v66
	v_add_f16_e32 v66, v70, v102
	v_fmac_f16_e32 v118, 0x34f2, v72
	v_fmac_f16_e32 v0, 0x34f2, v72
	v_sub_f16_e32 v63, v63, v102
	v_sub_f16_e32 v70, v2, v57
	v_fma_f16 v69, -0.5, v69, v1
	v_sub_f16_e32 v72, v91, v3
	v_add_f16_e32 v102, v1, v2
	v_fmac_f16_e32 v1, -0.5, v65
	v_sub_f16_e32 v2, v57, v2
	v_fmamk_f16 v112, v63, 0x3b9c, v69
	v_add_f16_e32 v70, v70, v72
	v_add_f16_e32 v65, v102, v57
	v_fmamk_f16 v57, v64, 0xbb9c, v1
	v_sub_f16_e32 v72, v3, v91
	v_fmac_f16_e32 v1, 0x3b9c, v64
	v_fmac_f16_e32 v112, 0x38b4, v64
	;; [unrolled: 1-line block ×4, first 2 shown]
	v_add_f16_e32 v2, v2, v72
	v_fmac_f16_e32 v1, 0xb8b4, v63
	v_fmac_f16_e32 v112, 0x34f2, v70
	;; [unrolled: 1-line block ×6, first 2 shown]
	v_mul_f16_e32 v2, 0x3a79, v112
	v_add_f16_e32 v3, v65, v3
	v_add_f16_e32 v80, v83, v124
	v_mul_f16_e32 v65, 0xbb9c, v57
	v_mul_f16_e32 v72, 0xbb9c, v1
	;; [unrolled: 1-line block ×3, first 2 shown]
	v_fmac_f16_e32 v2, 0x38b4, v73
	v_sub_f16_e32 v83, v83, v124
	v_add_f16_e32 v120, v121, v89
	v_sub_f16_e32 v89, v121, v89
	v_fmac_f16_e32 v1, 0x3b9c, v0
	v_mul_f16_e32 v64, 0xb8b4, v112
	v_add_f16_e32 v3, v3, v91
	v_fmac_f16_e32 v69, 0x34f2, v70
	v_fmac_f16_e32 v65, 0x34f2, v118
	v_add_f16_e32 v112, v68, v2
	v_add_f16_e32 v115, v56, v1
	v_sub_f16_e32 v121, v68, v2
	v_and_b32_e32 v2, 0xffff, v52
	v_sub_f16_e32 v124, v56, v1
	v_and_b32_e32 v1, 0xffff, v55
	v_fmac_f16_e32 v64, 0x3a79, v73
	v_mul_f16_e32 v73, 0xb8b4, v69
	v_add_f16_e32 v91, v119, v65
	v_add_f16_e32 v102, v84, v3
	v_sub_f16_e32 v65, v119, v65
	v_sub_f16_e32 v119, v84, v3
	v_mul_u32_u24_e32 v2, 0xb4, v2
	v_lshlrev_b32_e32 v3, 1, v53
	v_mul_u32_u24_e32 v1, 0xb4, v1
	v_lshlrev_b32_e32 v52, 1, v54
	v_fmac_f16_e32 v72, 0xb4f2, v0
	v_mul_f16_e32 v57, 0x34f2, v57
	v_fmac_f16_e32 v73, 0xba79, v67
	v_mul_f16_e32 v69, 0xba79, v69
	v_add3_u32 v3, 0, v2, v3
	v_add3_u32 v1, 0, v1, v52
	v_mul_u32_u24_e32 v2, 0xb4, v58
	v_lshlrev_b32_e32 v52, 1, v59
	v_add_f16_e32 v0, v51, v72
	v_add_f16_e32 v63, v85, v66
	;; [unrolled: 1-line block ×3, first 2 shown]
	v_fmac_f16_e32 v57, 0x3b9c, v118
	v_fmac_f16_e32 v69, 0x38b4, v67
	v_add_f16_e32 v67, v81, v73
	v_sub_f16_e32 v66, v85, v66
	v_sub_f16_e32 v64, v114, v64
	;; [unrolled: 1-line block ×4, first 2 shown]
	global_wb scope:SCOPE_SE
	s_barrier_signal -1
	s_barrier_wait -1
	global_inv scope:SCOPE_SE
	ds_store_b16 v3, v90
	ds_store_b16 v3, v92 offset:18
	ds_store_b16 v3, v93 offset:36
	;; [unrolled: 1-line block ×9, first 2 shown]
	v_add3_u32 v53, 0, v2, v52
	ds_store_b16 v1, v87
	ds_store_b16 v1, v116 offset:18
	ds_store_b16 v1, v120 offset:36
	;; [unrolled: 1-line block ×9, first 2 shown]
	ds_store_b16 v53, v63
	ds_store_b16 v53, v70 offset:18
	ds_store_b16 v53, v91 offset:36
	;; [unrolled: 1-line block ×9, first 2 shown]
	v_add_nc_u32_e32 v0, 0xffffffa6, v28
	v_add_f16_e32 v114, v86, v57
	v_add_f16_e32 v118, v71, v69
	v_sub_f16_e32 v123, v86, v57
	v_sub_f16_e32 v125, v71, v69
	global_wb scope:SCOPE_SE
	s_wait_dscnt 0x0
	s_barrier_signal -1
	s_barrier_wait -1
	global_inv scope:SCOPE_SE
	ds_load_u16 v74, v40 offset:2592
	ds_load_u16 v51, v45
	ds_load_u16 v57, v40
	ds_load_u16 v87, v40 offset:1296
	ds_load_u16 v85, v40 offset:1512
	;; [unrolled: 1-line block ×11, first 2 shown]
	ds_load_u16 v113, v46
	ds_load_u16 v2, v44
	ds_load_u16 v89, v40 offset:2376
	ds_load_u16 v116, v40 offset:2160
	;; [unrolled: 1-line block ×11, first 2 shown]
	ds_load_u16 v52, v38
	ds_load_u16 v54, v39
	ds_load_u16 v60, v40 offset:6264
	global_wb scope:SCOPE_SE
	s_wait_dscnt 0x0
	s_barrier_signal -1
	s_barrier_wait -1
	global_inv scope:SCOPE_SE
	ds_store_b16 v3, v62
	ds_store_b16 v3, v75 offset:18
	ds_store_b16 v3, v78 offset:36
	;; [unrolled: 1-line block ×9, first 2 shown]
	s_wait_alu 0xf1ff
	v_cndmask_b32_e64 v3, v0, v28, s0
	ds_store_b16 v1, v101
	ds_store_b16 v1, v103 offset:18
	ds_store_b16 v1, v104 offset:36
	;; [unrolled: 1-line block ×9, first 2 shown]
	v_mov_b32_e32 v1, 0
	ds_store_b16 v53, v102
	ds_store_b16 v53, v112 offset:18
	ds_store_b16 v53, v114 offset:36
	;; [unrolled: 1-line block ×9, first 2 shown]
	v_mul_i32_i24_e32 v0, 5, v3
	global_wb scope:SCOPE_SE
	s_wait_dscnt 0x0
	s_barrier_signal -1
	s_barrier_wait -1
	global_inv scope:SCOPE_SE
	v_lshlrev_b64_e32 v[55:56], 2, v[0:1]
	v_lshrrev_b16 v0, 14, v50
	v_lshlrev_b32_e32 v3, 1, v3
	s_delay_alu instid0(VALU_DEP_3) | instskip(SKIP_1) | instid1(VALU_DEP_4)
	v_add_co_u32 v61, s0, s4, v55
	s_wait_alu 0xf1ff
	v_add_co_ci_u32_e64 v62, s0, s5, v56, s0
	v_mul_lo_u16 v50, 0x5a, v0
	v_mul_lo_u16 v56, 0x5a, v48
	v_cmp_lt_u32_e64 s0, 0x59, v28
	global_load_b128 v[75:78], v[61:62], off offset:348
	v_and_b32_e32 v0, 0xffff, v0
	v_sub_nc_u16 v50, v31, v50
	s_delay_alu instid0(VALU_DEP_2) | instskip(NEXT) | instid1(VALU_DEP_2)
	v_mul_u32_u24_e32 v0, 0x438, v0
	v_and_b32_e32 v50, 0xff, v50
	s_delay_alu instid0(VALU_DEP_1) | instskip(SKIP_1) | instid1(VALU_DEP_2)
	v_mul_u32_u24_e32 v53, 5, v50
	v_lshlrev_b32_e32 v50, 1, v50
	v_lshlrev_b32_e32 v58, 2, v53
	v_mul_lo_u16 v53, 0x5a, v49
	s_delay_alu instid0(VALU_DEP_3) | instskip(SKIP_2) | instid1(VALU_DEP_1)
	v_add3_u32 v0, 0, v0, v50
	global_load_b128 v[90:93], v58, s[4:5] offset:348
	v_sub_nc_u16 v53, v32, v53
	v_and_b32_e32 v53, 0xffff, v53
	s_delay_alu instid0(VALU_DEP_1) | instskip(NEXT) | instid1(VALU_DEP_1)
	v_mul_u32_u24_e32 v55, 5, v53
	v_lshlrev_b32_e32 v79, 2, v55
	v_sub_nc_u16 v55, v33, v56
	global_load_b128 v[94:97], v79, s[4:5] offset:348
	v_and_b32_e32 v55, 0xffff, v55
	s_delay_alu instid0(VALU_DEP_1) | instskip(NEXT) | instid1(VALU_DEP_1)
	v_mul_u32_u24_e32 v56, 5, v55
	v_lshlrev_b32_e32 v80, 2, v56
	v_mul_lo_u16 v56, 0x5a, v47
	global_load_b128 v[98:101], v80, s[4:5] offset:348
	v_sub_nc_u16 v56, v34, v56
	s_delay_alu instid0(VALU_DEP_1) | instskip(NEXT) | instid1(VALU_DEP_1)
	v_and_b32_e32 v56, 0xffff, v56
	v_mul_u32_u24_e32 v82, 5, v56
	s_delay_alu instid0(VALU_DEP_1)
	v_lshlrev_b32_e32 v82, 2, v82
	s_clause 0x5
	global_load_b128 v[102:105], v82, s[4:5] offset:348
	global_load_b32 v61, v[61:62], off offset:364
	global_load_b32 v62, v58, s[4:5] offset:364
	global_load_b32 v79, v79, s[4:5] offset:364
	;; [unrolled: 1-line block ×4, first 2 shown]
	ds_load_u16 v83, v46
	ds_load_u16 v106, v40 offset:2160
	ds_load_u16 v107, v40 offset:4320
	;; [unrolled: 1-line block ×10, first 2 shown]
	ds_load_u16 v58, v44
	ds_load_u16 v121, v40 offset:1944
	ds_load_u16 v123, v40 offset:4104
	ds_load_u16 v128, v40 offset:1296
	s_wait_loadcnt 0x9
	v_lshrrev_b32_e32 v119, 16, v75
	v_lshrrev_b32_e32 v122, 16, v76
	;; [unrolled: 1-line block ×3, first 2 shown]
	s_wait_dscnt 0xe
	s_delay_alu instid0(VALU_DEP_3) | instskip(SKIP_3) | instid1(VALU_DEP_3)
	v_mul_f16_e32 v124, v83, v119
	v_mul_f16_e32 v119, v113, v119
	s_wait_dscnt 0xd
	v_mul_f16_e32 v126, v106, v122
	v_fmac_f16_e32 v124, v113, v75
	s_delay_alu instid0(VALU_DEP_3) | instskip(SKIP_1) | instid1(VALU_DEP_4)
	v_fma_f16 v75, v83, v75, -v119
	v_mul_f16_e32 v83, v116, v122
	v_fmac_f16_e32 v126, v116, v76
	v_lshrrev_b32_e32 v113, 16, v78
	s_wait_dscnt 0x7
	v_mul_f16_e32 v116, v112, v127
	v_mul_f16_e32 v119, v120, v127
	v_fma_f16 v76, v106, v76, -v83
	ds_load_u16 v106, v40 offset:4536
	ds_load_u16 v125, v40 offset:3024
	v_mul_f16_e32 v122, v107, v113
	v_mul_f16_e32 v113, v117, v113
	s_wait_loadcnt 0x8
	v_lshrrev_b32_e32 v83, 16, v90
	v_fmac_f16_e32 v116, v120, v77
	v_fma_f16 v77, v112, v77, -v119
	v_fmac_f16_e32 v122, v117, v78
	v_fma_f16 v78, v107, v78, -v113
	v_lshrrev_b32_e32 v107, 16, v91
	v_lshrrev_b32_e32 v112, 16, v92
	ds_load_u16 v113, v40
	s_wait_dscnt 0x3
	v_mul_f16_e64 v117, v128, v83
	v_mul_f16_e32 v83, v87, v83
	v_mul_f16_e32 v119, v108, v107
	;; [unrolled: 1-line block ×3, first 2 shown]
	v_lshrrev_b32_e32 v120, 16, v93
	v_fmac_f16_e32 v117, v87, v90
	v_fma_f16 v83, v128, v90, -v83
	v_fmac_f16_e32 v119, v89, v91
	v_mul_f16_e32 v89, v114, v112
	v_fma_f16 v87, v108, v91, -v107
	v_mul_f16_e32 v90, v88, v112
	ds_load_u16 v91, v40 offset:5832
	ds_load_u16 v107, v40 offset:6048
	ds_load_u16 v108, v40 offset:4752
	ds_load_u16 v112, v40 offset:4968
	ds_load_u16 v127, v40 offset:5184
	ds_load_u16 v128, v40 offset:5616
	ds_load_u16 v129, v40 offset:5400
	s_wait_dscnt 0x9
	v_mul_f16_e64 v130, v106, v120
	v_fmac_f16_e32 v89, v88, v92
	v_mul_f16_e32 v88, v86, v120
	s_wait_loadcnt 0x7
	v_lshrrev_b32_e32 v120, 16, v94
	v_fma_f16 v90, v114, v92, -v90
	v_fmac_f16_e64 v130, v86, v93
	v_lshrrev_b32_e32 v86, 16, v95
	v_fma_f16 v88, v106, v93, -v88
	v_mul_f16_e32 v92, v110, v120
	v_mul_f16_e32 v106, v85, v120
	ds_load_u16 v120, v40 offset:2808
	v_lshrrev_b32_e32 v93, 16, v96
	v_mul_f16_e32 v114, v109, v86
	v_mul_f16_e32 v86, v74, v86
	v_fmac_f16_e32 v92, v85, v94
	v_lshrrev_b32_e32 v85, 16, v97
	v_fma_f16 v94, v110, v94, -v106
	v_fmac_f16_e32 v114, v74, v95
	v_fma_f16 v74, v109, v95, -v86
	v_mul_f16_e32 v86, v115, v93
	v_mul_f16_e32 v93, v81, v93
	s_wait_dscnt 0x5
	v_mul_f16_e32 v95, v108, v85
	s_wait_loadcnt 0x6
	v_lshrrev_b32_e32 v106, 16, v98
	v_mul_f16_e32 v85, v84, v85
	v_fmac_f16_e32 v86, v81, v96
	v_fma_f16 v81, v115, v96, -v93
	v_fmac_f16_e32 v95, v84, v97
	v_mul_f16_e32 v84, v111, v106
	v_lshrrev_b32_e32 v93, 16, v99
	v_mul_f16_e32 v96, v73, v106
	v_fma_f16 v85, v108, v97, -v85
	ds_load_u16 v108, v40 offset:6264
	v_lshrrev_b32_e32 v97, 16, v100
	v_fmac_f16_e32 v84, v73, v98
	s_wait_dscnt 0x1
	v_mul_f16_e32 v106, v120, v93
	v_fma_f16 v96, v111, v98, -v96
	v_mul_f16_e32 v73, v69, v93
	v_mul_f16_e32 v93, v118, v97
	v_lshrrev_b32_e32 v98, 16, v101
	v_mul_f16_e32 v97, v71, v97
	v_fmac_f16_e32 v106, v69, v99
	v_fma_f16 v69, v120, v99, -v73
	v_fmac_f16_e32 v93, v71, v100
	v_mul_f16_e32 v71, v112, v98
	s_wait_loadcnt 0x5
	v_lshrrev_b32_e32 v73, 16, v102
	v_mul_f16_e32 v98, v68, v98
	v_lshrrev_b32_e32 v99, 16, v103
	v_fma_f16 v97, v118, v100, -v97
	v_fmac_f16_e32 v71, v68, v101
	v_mul_f16_e32 v68, v121, v73
	v_mul_f16_e32 v73, v70, v73
	v_fma_f16 v98, v112, v101, -v98
	v_mul_f16_e32 v100, v125, v99
	v_lshrrev_b32_e32 v101, 16, v104
	v_fmac_f16_e32 v68, v70, v102
	v_fma_f16 v70, v121, v102, -v73
	v_mul_f16_e32 v73, v72, v99
	v_fmac_f16_e32 v100, v72, v103
	v_mul_f16_e32 v99, v123, v101
	v_mul_f16_e32 v72, v67, v101
	v_lshrrev_b32_e32 v101, 16, v105
	v_fma_f16 v102, v125, v103, -v73
	s_wait_loadcnt 0x4
	v_lshrrev_b32_e32 v73, 16, v61
	v_fmac_f16_e32 v99, v67, v104
	v_fma_f16 v67, v123, v104, -v72
	v_mul_f16_e32 v103, v127, v101
	v_mul_f16_e32 v72, v66, v101
	v_mul_f16_e64 v101, v129, v73
	s_wait_loadcnt 0x3
	v_lshrrev_b32_e32 v104, 16, v62
	v_mul_f16_e32 v73, v65, v73
	v_fmac_f16_e32 v103, v66, v105
	v_fma_f16 v66, v127, v105, -v72
	v_fmac_f16_e32 v101, v65, v61
	v_mul_f16_e64 v65, v128, v104
	v_mul_f16_e32 v72, v64, v104
	v_fma_f16 v61, v129, v61, -v73
	s_wait_loadcnt 0x2
	v_lshrrev_b32_e32 v73, 16, v79
	ds_load_u16 v104, v45
	v_fmac_f16_e32 v65, v64, v62
	s_wait_loadcnt 0x1
	v_lshrrev_b32_e32 v64, 16, v80
	v_fma_f16 v62, v128, v62, -v72
	v_mul_f16_e32 v105, v91, v73
	s_wait_loadcnt 0x0
	v_lshrrev_b32_e32 v72, 16, v82
	v_mul_f16_e32 v73, v63, v73
	v_mul_f16_e32 v109, v107, v64
	;; [unrolled: 1-line block ×3, first 2 shown]
	v_fmac_f16_e32 v105, v63, v79
	s_wait_dscnt 0x1
	v_mul_f16_e32 v111, v108, v72
	v_fma_f16 v79, v91, v79, -v73
	v_fmac_f16_e32 v109, v59, v80
	v_add_f16_e32 v59, v126, v122
	v_mul_f16_e32 v72, v60, v72
	v_add_f16_e32 v73, v57, v126
	v_fma_f16 v64, v107, v80, -v64
	v_fmac_f16_e32 v111, v60, v82
	v_fmac_f16_e32 v57, -0.5, v59
	v_sub_f16_e32 v59, v76, v78
	v_fma_f16 v60, v108, v82, -v72
	v_add_f16_e32 v72, v113, v76
	v_add_f16_e32 v76, v76, v78
	v_sub_f16_e32 v82, v126, v122
	v_fmamk_f16 v80, v59, 0xbaee, v57
	v_fmac_f16_e32 v57, 0x3aee, v59
	v_add_f16_e32 v59, v77, v61
	v_add_f16_e32 v78, v72, v78
	v_fmac_f16_e32 v113, -0.5, v76
	v_add_f16_e32 v72, v116, v101
	v_add_f16_e32 v76, v75, v77
	v_fmac_f16_e32 v75, -0.5, v59
	v_sub_f16_e32 v59, v116, v101
	v_add_f16_e32 v91, v124, v116
	v_fmac_f16_e32 v124, -0.5, v72
	v_sub_f16_e32 v72, v77, v61
	ds_load_u16 v63, v38
	ds_load_u16 v110, v39
	v_fmamk_f16 v77, v59, 0x3aee, v75
	v_fmamk_f16 v107, v82, 0x3aee, v113
	v_fmac_f16_e32 v75, 0xbaee, v59
	v_fmac_f16_e32 v113, 0xbaee, v82
	v_fmamk_f16 v59, v72, 0xbaee, v124
	v_mul_f16_e32 v82, 0xbaee, v77
	v_add_f16_e32 v91, v91, v101
	v_add_f16_e32 v61, v76, v61
	v_mul_f16_e32 v76, 0.5, v77
	v_add_f16_e32 v73, v73, v122
	v_fmac_f16_e32 v82, 0.5, v59
	v_fmac_f16_e32 v124, 0x3aee, v72
	v_add_f16_e32 v72, v78, v61
	v_fmac_f16_e32 v76, 0x3aee, v59
	v_sub_f16_e32 v78, v78, v61
	v_add_f16_e32 v101, v80, v82
	v_sub_f16_e32 v80, v80, v82
	v_add_f16_e64 v82, v119, v130
	v_add_f16_e32 v61, v54, v119
	v_add_f16_e32 v77, v73, v91
	v_sub_f16_e32 v91, v73, v91
	v_add_f16_e32 v73, v107, v76
	v_fmac_f16_e32 v54, -0.5, v82
	v_sub_f16_e32 v82, v87, v88
	v_sub_f16_e32 v76, v107, v76
	s_wait_dscnt 0x0
	v_add_f16_e32 v107, v110, v87
	v_add_f16_e32 v87, v87, v88
	v_mul_f16_e32 v108, 0xbaee, v75
	v_fmamk_f16 v112, v82, 0xbaee, v54
	v_fmac_f16_e32 v54, 0x3aee, v82
	v_add_f16_e32 v82, v90, v62
	v_mul_f16_e32 v75, -0.5, v75
	v_add_f16_e32 v88, v107, v88
	v_fmac_f16_e32 v110, -0.5, v87
	v_add_f16_e32 v87, v89, v65
	v_add_f16_e32 v107, v83, v90
	v_fmac_f16_e32 v83, -0.5, v82
	v_sub_f16_e32 v82, v89, v65
	v_fmac_f16_e32 v108, -0.5, v124
	v_fmac_f16_e32 v75, 0x3aee, v124
	v_add_f16_e32 v89, v117, v89
	v_fmac_f16_e32 v117, -0.5, v87
	v_sub_f16_e32 v87, v90, v62
	v_fmamk_f16 v90, v82, 0x3aee, v83
	v_fmac_f16_e32 v83, 0xbaee, v82
	v_add_f16_e32 v59, v57, v108
	v_sub_f16_e32 v57, v57, v108
	v_add_f16_e32 v108, v113, v75
	v_sub_f16_e32 v75, v113, v75
	v_sub_f16_e64 v113, v119, v130
	v_fmamk_f16 v82, v87, 0xbaee, v117
	v_fmac_f16_e32 v117, 0x3aee, v87
	v_mul_f16_e32 v87, 0xbaee, v83
	v_add_f16_e32 v65, v89, v65
	v_fmamk_f16 v115, v113, 0x3aee, v110
	v_fmac_f16_e32 v110, 0xbaee, v113
	v_mul_f16_e32 v113, 0xbaee, v90
	v_mul_f16_e32 v89, 0.5, v90
	v_fmac_f16_e32 v87, -0.5, v117
	v_add_f16_e32 v62, v107, v62
	v_mul_f16_e32 v83, -0.5, v83
	v_fmac_f16_e32 v113, 0.5, v82
	v_fmac_f16_e32 v89, 0x3aee, v82
	v_add_f16_e32 v82, v54, v87
	v_sub_f16_e32 v54, v54, v87
	v_add_f16_e32 v87, v114, v95
	v_add_f16_e64 v61, v61, v130
	v_fmac_f16_e32 v83, 0x3aee, v117
	v_add_f16_e32 v116, v88, v62
	v_sub_f16_e32 v88, v88, v62
	v_add_f16_e32 v62, v52, v114
	v_fmac_f16_e32 v52, -0.5, v87
	v_sub_f16_e32 v87, v74, v85
	v_add_f16_e32 v90, v61, v65
	v_add_f16_e32 v107, v112, v113
	v_sub_f16_e32 v61, v61, v65
	v_sub_f16_e32 v65, v112, v113
	v_add_f16_e32 v112, v110, v83
	v_sub_f16_e32 v83, v110, v83
	v_add_f16_e32 v110, v63, v74
	v_add_f16_e32 v74, v74, v85
	v_fmamk_f16 v113, v87, 0xbaee, v52
	v_fmac_f16_e32 v52, 0x3aee, v87
	v_add_f16_e32 v87, v81, v79
	v_add_f16_e32 v85, v110, v85
	v_fmac_f16_e32 v63, -0.5, v74
	v_add_f16_e32 v74, v86, v105
	v_add_f16_e32 v110, v94, v81
	v_fmac_f16_e32 v94, -0.5, v87
	v_sub_f16_e32 v87, v86, v105
	v_add_f16_e32 v86, v92, v86
	v_fmac_f16_e32 v92, -0.5, v74
	v_sub_f16_e32 v74, v81, v79
	v_add_f16_e32 v62, v62, v95
	v_fmamk_f16 v81, v87, 0x3aee, v94
	v_fmac_f16_e32 v94, 0xbaee, v87
	v_sub_f16_e32 v95, v114, v95
	v_fmamk_f16 v87, v74, 0xbaee, v92
	v_fmac_f16_e32 v92, 0x3aee, v74
	v_add_f16_e32 v79, v110, v79
	v_mul_f16_e32 v74, 0xbaee, v94
	v_fmamk_f16 v114, v95, 0x3aee, v63
	v_fmac_f16_e32 v63, 0xbaee, v95
	v_mul_f16_e32 v95, 0xbaee, v81
	v_mul_f16_e32 v81, 0.5, v81
	v_fmac_f16_e32 v74, -0.5, v92
	v_mul_f16_e32 v94, -0.5, v94
	v_add_f16_e32 v86, v86, v105
	v_fmac_f16_e32 v95, 0.5, v87
	v_fmac_f16_e32 v81, 0x3aee, v87
	v_add_f16_e32 v87, v52, v74
	v_sub_f16_e32 v52, v52, v74
	v_add_f16_e32 v74, v106, v71
	v_fmac_f16_e32 v94, 0x3aee, v92
	v_add_f16_e32 v92, v85, v79
	v_sub_f16_e32 v79, v85, v79
	v_add_f16_e32 v85, v51, v106
	v_fmac_f16_e32 v51, -0.5, v74
	v_sub_f16_e32 v74, v69, v98
	v_add_f16_e32 v105, v62, v86
	v_add_f16_e32 v110, v113, v95
	v_sub_f16_e32 v62, v62, v86
	v_add_f16_e32 v86, v114, v81
	v_sub_f16_e32 v95, v113, v95
	;; [unrolled: 2-line block ×3, first 2 shown]
	v_sub_f16_e32 v94, v63, v94
	v_add_f16_e32 v63, v85, v71
	v_add_f16_e32 v85, v104, v69
	v_add_f16_e32 v69, v69, v98
	v_fmamk_f16 v114, v74, 0xbaee, v51
	v_fmac_f16_e32 v51, 0x3aee, v74
	v_add_f16_e32 v74, v97, v64
	v_add_f16_e32 v85, v85, v98
	v_fmac_f16_e32 v104, -0.5, v69
	v_add_f16_e32 v69, v93, v109
	v_add_f16_e32 v98, v96, v97
	v_fmac_f16_e32 v96, -0.5, v74
	v_sub_f16_e32 v74, v93, v109
	v_sub_f16_e32 v71, v106, v71
	v_add_f16_e32 v93, v84, v93
	v_fmac_f16_e32 v84, -0.5, v69
	v_sub_f16_e32 v69, v97, v64
	v_fmamk_f16 v97, v74, 0x3aee, v96
	v_fmac_f16_e32 v96, 0xbaee, v74
	v_fmamk_f16 v106, v71, 0x3aee, v104
	v_fmac_f16_e32 v104, 0xbaee, v71
	;; [unrolled: 2-line block ×3, first 2 shown]
	v_mul_f16_e32 v69, 0xbaee, v96
	v_mul_f16_e32 v74, 0xbaee, v97
	v_mul_f16_e32 v97, 0.5, v97
	v_add_f16_e32 v64, v98, v64
	v_mul_f16_e32 v96, -0.5, v96
	v_fmac_f16_e32 v69, -0.5, v84
	v_fmac_f16_e32 v74, 0.5, v71
	v_fmac_f16_e32 v97, 0x3aee, v71
	v_add_f16_e32 v93, v93, v109
	v_fmac_f16_e32 v96, 0x3aee, v84
	v_add_f16_e32 v71, v51, v69
	v_sub_f16_e32 v51, v51, v69
	v_add_f16_e32 v69, v100, v103
	v_add_f16_e32 v84, v85, v64
	v_sub_f16_e32 v85, v85, v64
	v_add_f16_e32 v64, v2, v100
	v_add_f16_e32 v98, v63, v93
	v_fmac_f16_e32 v2, -0.5, v69
	v_sub_f16_e32 v69, v102, v66
	v_add_f16_e32 v109, v114, v74
	v_sub_f16_e32 v63, v63, v93
	v_add_f16_e32 v93, v106, v97
	;; [unrolled: 2-line block ×3, first 2 shown]
	v_sub_f16_e32 v97, v106, v97
	v_sub_f16_e32 v96, v104, v96
	v_add_f16_e32 v104, v58, v102
	v_add_f16_e32 v102, v102, v66
	v_fmamk_f16 v106, v69, 0xbaee, v2
	v_fmac_f16_e32 v2, 0x3aee, v69
	v_add_f16_e32 v69, v67, v60
	v_add_f16_e32 v66, v104, v66
	v_fmac_f16_e32 v58, -0.5, v102
	v_add_f16_e32 v102, v99, v111
	v_add_f16_e32 v104, v70, v67
	v_fmac_f16_e32 v70, -0.5, v69
	v_sub_f16_e32 v69, v99, v111
	v_sub_f16_e32 v100, v100, v103
	v_add_f16_e32 v99, v68, v99
	v_fmac_f16_e32 v68, -0.5, v102
	v_sub_f16_e32 v67, v67, v60
	v_fmamk_f16 v102, v69, 0x3aee, v70
	v_fmac_f16_e32 v70, 0xbaee, v69
	v_add_f16_e32 v64, v64, v103
	v_fmamk_f16 v103, v100, 0x3aee, v58
	v_fmac_f16_e32 v58, 0xbaee, v100
	v_fmamk_f16 v69, v67, 0xbaee, v68
	v_mul_f16_e32 v100, 0xbaee, v102
	v_fmac_f16_e32 v68, 0x3aee, v67
	v_mul_f16_e32 v67, 0xbaee, v70
	v_mul_f16_e32 v102, 0.5, v102
	v_mul_f16_e32 v70, -0.5, v70
	v_add_f16_e32 v99, v99, v111
	v_fmac_f16_e32 v100, 0.5, v69
	v_add_f16_e32 v60, v104, v60
	v_fmac_f16_e32 v102, 0x3aee, v69
	v_fmac_f16_e32 v70, 0x3aee, v68
	v_fmac_f16_e32 v67, -0.5, v68
	v_add_f16_e32 v104, v64, v99
	v_add_f16_e32 v111, v106, v100
	v_sub_f16_e32 v64, v64, v99
	v_add_f16_e32 v99, v103, v102
	v_sub_f16_e32 v68, v106, v100
	;; [unrolled: 2-line block ×3, first 2 shown]
	v_sub_f16_e32 v103, v58, v70
	s_wait_alu 0xf1ff
	v_cndmask_b32_e64 v58, 0, 0x438, s0
	global_wb scope:SCOPE_SE
	s_barrier_signal -1
	s_barrier_wait -1
	global_inv scope:SCOPE_SE
	v_add3_u32 v118, 0, v58, v3
	v_mul_u32_u24_e32 v3, 0x438, v49
	v_lshlrev_b32_e32 v49, 1, v53
	ds_store_b16 v118, v77
	ds_store_b16 v118, v101 offset:180
	ds_store_b16 v118, v59 offset:360
	;; [unrolled: 1-line block ×5, first 2 shown]
	v_add_f16_e32 v69, v2, v67
	v_add3_u32 v77, 0, v3, v49
	v_mul_u32_u24_e32 v3, 0x438, v48
	v_lshlrev_b32_e32 v48, 1, v55
	v_sub_f16_e32 v2, v2, v67
	v_add_f16_e32 v117, v115, v89
	v_sub_f16_e32 v89, v115, v89
	v_add_f16_e32 v115, v66, v60
	v_add3_u32 v80, 0, v3, v48
	v_mul_u32_u24_e32 v3, 0x438, v47
	v_lshlrev_b32_e32 v47, 1, v56
	v_sub_f16_e32 v106, v66, v60
	ds_store_b16 v0, v90
	ds_store_b16 v0, v107 offset:180
	ds_store_b16 v0, v82 offset:360
	;; [unrolled: 1-line block ×5, first 2 shown]
	ds_store_b16 v77, v105
	ds_store_b16 v77, v110 offset:180
	ds_store_b16 v77, v87 offset:360
	;; [unrolled: 1-line block ×5, first 2 shown]
	v_add3_u32 v82, 0, v3, v47
	ds_store_b16 v80, v98
	ds_store_b16 v80, v109 offset:180
	ds_store_b16 v80, v71 offset:360
	;; [unrolled: 1-line block ×5, first 2 shown]
	ds_store_b16 v82, v104
	ds_store_b16 v82, v111 offset:180
	ds_store_b16 v82, v69 offset:360
	;; [unrolled: 1-line block ×5, first 2 shown]
	global_wb scope:SCOPE_SE
	s_wait_dscnt 0x0
	s_barrier_signal -1
	s_barrier_wait -1
	global_inv scope:SCOPE_SE
	ds_load_u16 v51, v40 offset:2592
	ds_load_u16 v48, v45
	ds_load_u16 v2, v40
	ds_load_u16 v45, v40 offset:1296
	ds_load_u16 v52, v40 offset:1512
	;; [unrolled: 1-line block ×11, first 2 shown]
	ds_load_u16 v67, v46
	ds_load_u16 v56, v44
	ds_load_u16 v46, v40 offset:2376
	ds_load_u16 v68, v40 offset:2160
	;; [unrolled: 1-line block ×11, first 2 shown]
	ds_load_u16 v44, v38
	ds_load_u16 v3, v39
	ds_load_u16 v66, v40 offset:6264
	global_wb scope:SCOPE_SE
	s_wait_dscnt 0x0
	s_barrier_signal -1
	s_barrier_wait -1
	global_inv scope:SCOPE_SE
	ds_store_b16 v118, v72
	ds_store_b16 v118, v73 offset:180
	ds_store_b16 v118, v108 offset:360
	ds_store_b16 v118, v78 offset:540
	ds_store_b16 v118, v76 offset:720
	ds_store_b16 v118, v75 offset:900
	ds_store_b16 v0, v116
	ds_store_b16 v0, v117 offset:180
	ds_store_b16 v0, v112 offset:360
	ds_store_b16 v0, v88 offset:540
	ds_store_b16 v0, v89 offset:720
	ds_store_b16 v0, v83 offset:900
	;; [unrolled: 6-line block ×5, first 2 shown]
	global_wb scope:SCOPE_SE
	s_wait_dscnt 0x0
	s_barrier_signal -1
	s_barrier_wait -1
	global_inv scope:SCOPE_SE
	s_and_saveexec_b32 s0, vcc_lo
	s_cbranch_execz .LBB0_15
; %bb.14:
	v_mul_u32_u24_e32 v0, 5, v28
	s_delay_alu instid0(VALU_DEP_1)
	v_lshlrev_b32_e32 v78, 2, v0
	v_mul_i32_i24_e32 v0, 5, v34
	s_clause 0x1
	global_load_b128 v[72:75], v78, s[4:5] offset:2148
	global_load_b32 v92, v78, s[4:5] offset:2164
	v_lshlrev_b64_e32 v[76:77], 2, v[0:1]
	v_mul_i32_i24_e32 v0, 5, v33
	s_delay_alu instid0(VALU_DEP_1) | instskip(NEXT) | instid1(VALU_DEP_3)
	v_lshlrev_b64_e32 v[33:34], 2, v[0:1]
	v_add_co_u32 v80, vcc_lo, s4, v76
	s_wait_alu 0xfffd
	s_delay_alu instid0(VALU_DEP_4) | instskip(SKIP_1) | instid1(VALU_DEP_4)
	v_add_co_ci_u32_e32 v81, vcc_lo, s5, v77, vcc_lo
	v_mul_i32_i24_e32 v0, 5, v32
	v_add_co_u32 v33, vcc_lo, s4, v33
	s_wait_alu 0xfffd
	v_add_co_ci_u32_e32 v34, vcc_lo, s5, v34, vcc_lo
	s_clause 0x3
	global_load_b128 v[76:79], v[80:81], off offset:2148
	global_load_b32 v93, v[80:81], off offset:2164
	global_load_b128 v[80:83], v[33:34], off offset:2148
	global_load_b32 v34, v[33:34], off offset:2164
	v_lshlrev_b64_e32 v[32:33], 2, v[0:1]
	v_mul_i32_i24_e32 v0, 5, v31
	v_sub_nc_u32_e32 v31, 0, v43
	s_delay_alu instid0(VALU_DEP_2) | instskip(NEXT) | instid1(VALU_DEP_4)
	v_lshlrev_b64_e32 v[0:1], 2, v[0:1]
	v_add_co_u32 v32, vcc_lo, s4, v32
	s_wait_alu 0xfffd
	v_add_co_ci_u32_e32 v33, vcc_lo, s5, v33, vcc_lo
	s_clause 0x1
	global_load_b128 v[84:87], v[32:33], off offset:2148
	global_load_b32 v32, v[32:33], off offset:2164
	v_add_co_u32 v0, vcc_lo, s4, v0
	s_wait_alu 0xfffd
	v_add_co_ci_u32_e32 v1, vcc_lo, s5, v1, vcc_lo
	s_clause 0x1
	global_load_b128 v[88:91], v[0:1], off offset:2148
	global_load_b32 v33, v[0:1], off offset:2164
	v_add_nc_u32_e32 v31, v37, v31
	v_sub_nc_u32_e32 v0, 0, v41
	v_sub_nc_u32_e32 v1, 0, v42
	ds_load_u16 v41, v40 offset:6264
	ds_load_u16 v42, v40 offset:4320
	;; [unrolled: 1-line block ×20, first 2 shown]
	ds_load_u16 v31, v31
	v_add_nc_u32_e32 v0, v35, v0
	v_add_nc_u32_e32 v1, v36, v1
	ds_load_u16 v35, v40 offset:1944
	ds_load_u16 v36, v40 offset:1728
	;; [unrolled: 1-line block ×4, first 2 shown]
	ds_load_u16 v112, v40
	ds_load_u16 v40, v0
	;; [unrolled: 1-line block ×5, first 2 shown]
	s_wait_loadcnt 0x9
	v_lshrrev_b32_e32 v1, 16, v73
	v_lshrrev_b32_e32 v113, 16, v75
	;; [unrolled: 1-line block ×4, first 2 shown]
	s_wait_loadcnt 0x8
	v_lshrrev_b32_e32 v116, 16, v92
	v_mul_f16_e32 v117, v68, v1
	v_mul_f16_e32 v118, v69, v113
	s_wait_dscnt 0xa
	v_mul_f16_e32 v119, v109, v1
	v_mul_f16_e32 v113, v42, v113
	s_wait_dscnt 0x9
	v_mul_f16_e32 v120, v114, v31
	v_mul_f16_e32 v121, v115, v97
	;; [unrolled: 1-line block ×6, first 2 shown]
	v_fma_f16 v109, v73, v109, -v117
	v_fma_f16 v117, v75, v42, -v118
	s_wait_loadcnt 0x7
	v_lshrrev_b32_e32 v116, 16, v76
	v_lshrrev_b32_e32 v123, 16, v77
	;; [unrolled: 1-line block ×4, first 2 shown]
	s_wait_loadcnt 0x6
	v_lshrrev_b32_e32 v126, 16, v93
	v_fmac_f16_e32 v119, v68, v73
	v_fmac_f16_e32 v113, v69, v75
	;; [unrolled: 1-line block ×5, first 2 shown]
	v_fma_f16 v67, v74, v97, -v1
	v_fma_f16 v68, v92, v103, -v115
	;; [unrolled: 1-line block ×3, first 2 shown]
	v_mul_f16_e32 v1, v64, v123
	v_mul_f16_e32 v31, v65, v125
	v_mul_f16_e32 v42, v98, v123
	v_mul_f16_e32 v70, v104, v125
	s_wait_dscnt 0x8
	v_mul_f16_e32 v71, v116, v35
	v_mul_f16_e32 v72, v124, v43
	v_mul_f16_e32 v73, v126, v41
	v_mul_f16_e32 v74, v63, v124
	v_mul_f16_e32 v75, v66, v126
	v_mul_f16_e32 v92, v62, v116
	s_wait_loadcnt 0x5
	v_lshrrev_b32_e32 v97, 16, v80
	v_lshrrev_b32_e32 v103, 16, v81
	;; [unrolled: 1-line block ×4, first 2 shown]
	s_wait_loadcnt 0x4
	v_lshrrev_b32_e32 v116, 16, v34
	v_add_f16_e32 v118, v109, v117
	v_add_f16_e32 v123, v121, v122
	;; [unrolled: 1-line block ×3, first 2 shown]
	v_fma_f16 v1, v77, v98, -v1
	v_fma_f16 v31, v79, v104, -v31
	v_fmac_f16_e32 v42, v64, v77
	v_fmac_f16_e32 v70, v65, v79
	;; [unrolled: 1-line block ×5, first 2 shown]
	v_fma_f16 v43, v78, v43, -v74
	v_fma_f16 v41, v93, v41, -v75
	;; [unrolled: 1-line block ×3, first 2 shown]
	v_mul_f16_e32 v62, v58, v103
	v_mul_f16_e32 v63, v60, v115
	;; [unrolled: 1-line block ×4, first 2 shown]
	s_wait_dscnt 0x7
	v_mul_f16_e32 v66, v97, v36
	v_mul_f16_e32 v74, v114, v94
	;; [unrolled: 1-line block ×6, first 2 shown]
	s_wait_loadcnt 0x3
	v_lshrrev_b32_e32 v79, 16, v84
	v_lshrrev_b32_e32 v92, 16, v85
	;; [unrolled: 1-line block ×4, first 2 shown]
	s_wait_loadcnt 0x2
	v_lshrrev_b32_e32 v98, 16, v32
	s_wait_dscnt 0x4
	v_fma_f16 v103, -0.5, v118, v112
	v_fma_f16 v104, -0.5, v123, v120
	;; [unrolled: 1-line block ×3, first 2 shown]
	v_sub_f16_e32 v116, v42, v70
	v_add_f16_e32 v118, v72, v73
	v_sub_f16_e32 v123, v43, v41
	v_add_f16_e32 v125, v43, v41
	;; [unrolled: 2-line block ×3, first 2 shown]
	v_add_f16_e64 v129, v42, v70
	v_add_f16_e32 v42, v56, v42
	v_add_f16_e32 v72, v71, v72
	v_fma_f16 v62, v81, v99, -v62
	v_fma_f16 v63, v83, v105, -v63
	v_fmac_f16_e32 v64, v58, v81
	v_fmac_f16_e32 v65, v60, v83
	v_fmac_f16_e32 v66, v57, v80
	v_fmac_f16_e32 v74, v59, v82
	v_fmac_f16_e32 v75, v61, v34
	v_fma_f16 v57, v82, v94, -v76
	v_fma_f16 v34, v34, v100, -v77
	;; [unrolled: 1-line block ×3, first 2 shown]
	v_mul_f16_e32 v58, v51, v92
	v_mul_f16_e32 v59, v54, v97
	;; [unrolled: 1-line block ×10, first 2 shown]
	s_wait_loadcnt 0x1
	v_lshrrev_b32_e32 v82, 16, v88
	v_lshrrev_b32_e32 v83, 16, v89
	;; [unrolled: 1-line block ×4, first 2 shown]
	s_wait_loadcnt 0x0
	v_lshrrev_b32_e32 v94, 16, v33
	v_add_f16_e32 v115, v1, v31
	s_wait_dscnt 0x2
	v_add_f16_e64 v128, v0, v1
	v_sub_f16_e32 v1, v1, v31
	v_fma_f16 v71, -0.5, v118, v71
	v_fma_f16 v35, -0.5, v125, v35
	v_add_f16_e32 v41, v43, v41
	v_fma_f16 v43, -0.5, v129, v56
	v_add_f16_e32 v42, v42, v70
	v_add_f16_e32 v56, v72, v73
	;; [unrolled: 1-line block ×3, first 2 shown]
	v_sub_f16_e32 v72, v64, v65
	v_add_f16_e32 v73, v74, v75
	v_sub_f16_e32 v99, v57, v34
	v_add_f16_e32 v100, v57, v34
	;; [unrolled: 2-line block ×3, first 2 shown]
	v_add_f16_e32 v118, v64, v65
	v_add_f16_e32 v64, v48, v64
	v_add_f16_e32 v74, v66, v74
	v_fma_f16 v37, v85, v37, -v58
	v_fma_f16 v58, v87, v106, -v59
	v_fmac_f16_e32 v60, v51, v85
	v_fmac_f16_e32 v61, v54, v87
	;; [unrolled: 1-line block ×5, first 2 shown]
	v_fma_f16 v51, v86, v95, -v80
	v_fma_f16 v52, v32, v101, -v81
	;; [unrolled: 1-line block ×3, first 2 shown]
	v_mul_f16_e32 v54, v46, v83
	v_mul_f16_e32 v55, v47, v93
	;; [unrolled: 1-line block ×8, first 2 shown]
	v_fma_f16 v98, -0.5, v115, v0
	v_add_f16_e64 v31, v128, v31
	v_add_f16_e32 v115, v40, v62
	v_sub_f16_e32 v62, v62, v63
	v_mul_f16_e32 v79, v107, v93
	v_mul_f16_e32 v82, v45, v82
	v_fmamk_f16 v92, v127, 0xbaee, v35
	v_fmamk_f16 v93, v1, 0x3aee, v43
	v_fmac_f16_e32 v43, 0xbaee, v1
	v_sub_f16_e32 v1, v42, v56
	v_add_f16_e32 v32, v42, v56
	v_fma_f16 v56, -0.5, v70, v40
	v_fma_f16 v42, -0.5, v73, v66
	v_add_f16_e32 v34, v57, v34
	v_fma_f16 v57, -0.5, v118, v48
	v_add_f16_e32 v48, v64, v65
	v_add_f16_e32 v64, v74, v75
	;; [unrolled: 1-line block ×3, first 2 shown]
	v_sub_f16_e32 v66, v60, v61
	v_add_f16_e32 v70, v77, v78
	v_sub_f16_e32 v73, v51, v52
	v_add_f16_e32 v74, v51, v52
	;; [unrolled: 2-line block ×3, first 2 shown]
	v_add_f16_e32 v95, v60, v61
	v_add_f16_e32 v60, v44, v60
	;; [unrolled: 1-line block ×3, first 2 shown]
	v_fma_f16 v54, v89, v108, -v54
	v_fma_f16 v55, v91, v107, -v55
	v_fmac_f16_e32 v80, v45, v88
	v_fmac_f16_e32 v81, v49, v90
	;; [unrolled: 1-line block ×3, first 2 shown]
	v_fma_f16 v45, v90, v96, -v84
	v_fma_f16 v33, v33, v102, -v85
	v_fmamk_f16 v87, v123, 0x3aee, v71
	v_fmac_f16_e32 v35, 0x3aee, v127
	v_sub_f16_e32 v0, v31, v41
	v_add_f16_e32 v31, v31, v41
	v_fma_f16 v36, -0.5, v100, v36
	v_add_f16_e32 v63, v115, v63
	s_wait_dscnt 0x1
	v_add_f16_e32 v94, v38, v37
	v_fmac_f16_e32 v59, v46, v89
	v_fmac_f16_e32 v79, v47, v91
	v_fma_f16 v49, v88, v111, -v82
	v_mul_f16_e32 v50, -0.5, v92
	v_mul_f16_e32 v84, 0xbaee, v92
	v_fmamk_f16 v88, v72, 0xbaee, v56
	v_fmac_f16_e32 v56, 0x3aee, v72
	v_fmamk_f16 v72, v62, 0x3aee, v57
	v_fmac_f16_e32 v57, 0xbaee, v62
	v_sub_f16_e32 v41, v48, v64
	v_add_f16_e32 v47, v48, v64
	v_fma_f16 v62, -0.5, v65, v38
	v_fma_f16 v48, -0.5, v74, v53
	v_add_f16_e32 v38, v51, v52
	v_fma_f16 v51, -0.5, v95, v44
	v_add_f16_e32 v44, v60, v61
	v_add_f16_e32 v52, v77, v78
	;; [unrolled: 1-line block ×5, first 2 shown]
	v_fmamk_f16 v86, v116, 0xbaee, v98
	v_fmac_f16_e32 v71, 0xbaee, v123
	v_sub_f16_e32 v37, v37, v58
	v_mul_f16_e32 v82, 0.5, v35
	v_mul_f16_e32 v85, 0xbaee, v35
	v_fmamk_f16 v35, v105, 0xbaee, v36
	v_fmac_f16_e32 v36, 0x3aee, v105
	v_sub_f16_e32 v40, v63, v34
	v_add_f16_e32 v46, v63, v34
	v_fma_f16 v63, -0.5, v70, v76
	v_add_f16_e32 v34, v94, v58
	v_sub_f16_e32 v61, v45, v33
	v_sub_f16_e32 v65, v81, v83
	s_wait_dscnt 0x0
	v_add_f16_e32 v70, v39, v54
	v_add_f16_e32 v45, v49, v45
	v_add_f16_e32 v74, v59, v79
	v_fmac_f16_e32 v50, 0x3aee, v87
	v_fmac_f16_e32 v84, -0.5, v87
	v_fmamk_f16 v91, v75, 0xbaee, v48
	v_fmac_f16_e32 v48, 0x3aee, v75
	v_sub_f16_e32 v75, v44, v52
	v_add_f16_e32 v94, v44, v52
	v_fma_f16 v52, -0.5, v53, v39
	v_fma_f16 v53, -0.5, v60, v80
	;; [unrolled: 1-line block ×3, first 2 shown]
	v_fmac_f16_e32 v98, 0x3aee, v116
	v_fmamk_f16 v89, v99, 0x3aee, v42
	v_fmac_f16_e32 v42, 0xbaee, v99
	v_sub_f16_e32 v58, v59, v79
	v_sub_f16_e32 v54, v54, v55
	v_add_f16_e32 v59, v3, v59
	v_add_f16_e32 v76, v80, v81
	v_fmac_f16_e32 v82, 0x3aee, v71
	v_mul_f16_e32 v77, 0.5, v36
	v_mul_f16_e32 v78, 0xbaee, v35
	v_mul_f16_e32 v81, 0xbaee, v36
	v_fmamk_f16 v90, v73, 0x3aee, v63
	v_fmac_f16_e32 v63, 0xbaee, v73
	v_fmamk_f16 v73, v37, 0x3aee, v51
	v_fmac_f16_e32 v51, 0xbaee, v37
	v_add_f16_e32 v55, v70, v55
	v_add_f16_e32 v64, v45, v33
	v_fma_f16 v70, -0.5, v74, v3
	v_sub_f16_e32 v3, v86, v50
	v_sub_f16_e32 v33, v93, v84
	v_add_f16_e32 v36, v86, v50
	v_add_f16_e32 v37, v93, v84
	v_mul_f16_e32 v50, -0.5, v91
	v_fmamk_f16 v84, v65, 0xbaee, v60
	v_fmac_f16_e32 v85, 0.5, v71
	v_mul_f16_e32 v71, -0.5, v35
	v_fmamk_f16 v87, v66, 0xbaee, v62
	v_fmac_f16_e32 v62, 0x3aee, v66
	v_sub_f16_e32 v66, v34, v38
	v_add_f16_e32 v92, v34, v38
	v_add_f16_e32 v59, v59, v79
	;; [unrolled: 1-line block ×3, first 2 shown]
	v_sub_f16_e32 v34, v98, v82
	v_add_f16_e32 v38, v98, v82
	v_fmac_f16_e32 v78, -0.5, v89
	v_fmac_f16_e32 v81, 0.5, v42
	v_mul_f16_e32 v76, 0.5, v48
	v_mul_f16_e32 v79, 0xbaee, v91
	v_mul_f16_e32 v80, 0xbaee, v48
	v_fmamk_f16 v82, v58, 0xbaee, v52
	v_fmamk_f16 v83, v61, 0x3aee, v53
	v_fmac_f16_e32 v52, 0x3aee, v58
	v_fmamk_f16 v58, v54, 0x3aee, v70
	v_fmac_f16_e32 v70, 0xbaee, v54
	v_fmac_f16_e32 v50, 0x3aee, v90
	v_mul_f16_e32 v54, -0.5, v84
	v_fmac_f16_e32 v71, 0x3aee, v89
	v_fmac_f16_e32 v77, 0x3aee, v42
	;; [unrolled: 1-line block ×3, first 2 shown]
	v_sub_f16_e32 v126, v121, v122
	v_sub_f16_e32 v35, v43, v85
	v_add_f16_e32 v39, v43, v85
	v_sub_f16_e32 v43, v72, v78
	v_sub_f16_e32 v45, v57, v81
	v_add_f16_e32 v49, v72, v78
	v_add_f16_e32 v72, v57, v81
	v_fmac_f16_e32 v76, 0x3aee, v63
	v_fmac_f16_e32 v79, -0.5, v90
	v_fmac_f16_e32 v80, 0.5, v63
	v_mul_f16_e32 v57, 0xbaee, v84
	v_sub_f16_e32 v63, v87, v50
	v_add_f16_e32 v84, v87, v50
	v_fmac_f16_e32 v54, 0x3aee, v83
	v_sub_f16_e32 v50, v119, v113
	v_fmac_f16_e32 v53, 0xbaee, v61
	v_sub_f16_e32 v42, v88, v71
	v_sub_f16_e32 v44, v56, v77
	v_add_f16_e32 v48, v88, v71
	v_add_f16_e32 v71, v56, v77
	v_mul_f16_e32 v56, 0.5, v60
	v_sub_f16_e32 v124, v67, v68
	v_fmamk_f16 v97, v126, 0xbaee, v114
	v_mul_f16_e32 v60, 0xbaee, v60
	v_sub_f16_e32 v78, v73, v79
	v_add_f16_e32 v73, v73, v79
	v_fmac_f16_e32 v57, -0.5, v83
	v_sub_f16_e32 v79, v82, v54
	v_add_f16_e32 v82, v82, v54
	v_fmamk_f16 v54, v50, 0xbaee, v103
	v_fmac_f16_e32 v103, 0x3aee, v50
	v_add_f16_e32 v50, v119, v113
	v_fmac_f16_e32 v56, 0x3aee, v53
	v_sub_f16_e32 v77, v62, v76
	v_sub_f16_e32 v81, v51, v80
	v_add_f16_e32 v62, v62, v76
	v_fmac_f16_e32 v60, 0.5, v53
	v_add_f16_e32 v76, v51, v80
	v_sub_f16_e32 v83, v58, v57
	v_fmamk_f16 v51, v124, 0x3aee, v104
	v_mul_f16_e32 v61, -0.5, v97
	v_add_f16_e32 v88, v58, v57
	v_fma_f16 v57, -0.5, v50, v2
	v_sub_f16_e32 v50, v109, v117
	v_mul_f16_e32 v58, 0xbaee, v97
	v_sub_f16_e32 v80, v52, v56
	v_add_f16_e32 v87, v52, v56
	v_add_f16_e32 v52, v112, v109
	v_fmac_f16_e32 v114, 0x3aee, v126
	v_sub_f16_e32 v86, v70, v60
	v_fmac_f16_e32 v61, 0x3aee, v51
	v_add_f16_e32 v70, v70, v60
	v_fmamk_f16 v60, v50, 0x3aee, v57
	v_fmac_f16_e32 v58, -0.5, v51
	v_fmac_f16_e32 v57, 0xbaee, v50
	v_mad_co_u64_u32 v[50:51], null, s8, v28, 0
	v_add_f16_e32 v53, v69, v67
	v_add_f16_e32 v56, v52, v117
	;; [unrolled: 1-line block ×3, first 2 shown]
	v_sub_f16_e32 v65, v55, v64
	v_add_f16_e32 v64, v55, v64
	v_fmac_f16_e32 v104, 0xbaee, v124
	v_mul_f16_e32 v55, 0.5, v114
	v_add_f16_e32 v2, v2, v119
	v_sub_f16_e32 v85, v59, v74
	v_add_f16_e32 v74, v59, v74
	v_add_f16_e32 v59, v53, v68
	;; [unrolled: 1-line block ×3, first 2 shown]
	v_mad_co_u64_u32 v[52:53], null, s8, v25, 0
	v_fmac_f16_e32 v55, 0x3aee, v104
	v_add_f16_e32 v68, v2, v113
	v_mov_b32_e32 v2, v51
	v_mul_f16_e32 v67, 0xbaee, v114
	v_sub_f16_e32 v89, v54, v61
	v_sub_f16_e32 v90, v103, v55
	v_add_f16_e32 v97, v54, v61
	v_add_f16_e32 v61, v103, v55
	v_mad_co_u64_u32 v[54:55], null, s9, v28, v[2:3]
	v_mov_b32_e32 v2, v53
	v_fmac_f16_e32 v67, 0.5, v104
	v_sub_f16_e32 v91, v56, v59
	v_add_f16_e32 v59, v56, v59
	v_mad_co_u64_u32 v[55:56], null, s8, v30, 0
	v_sub_f16_e32 v93, v60, v58
	v_sub_f16_e32 v95, v57, v67
	v_add_f16_e32 v98, v60, v58
	v_add_f16_e32 v28, v57, v67
	v_mad_co_u64_u32 v[57:58], null, s9, v25, v[2:3]
	v_mov_b32_e32 v25, v56
	v_add_co_u32 v2, vcc_lo, s10, v4
	s_wait_alu 0xfffd
	v_add_co_ci_u32_e32 v4, vcc_lo, s11, v5, vcc_lo
	v_add_f16_e32 v60, v68, v69
	v_mov_b32_e32 v53, v57
	v_mad_co_u64_u32 v[56:57], null, s9, v30, v[25:26]
	v_mad_co_u64_u32 v[57:58], null, s8, v29, 0
	v_mov_b32_e32 v51, v54
	v_pack_b32_f16 v67, v28, v61
	v_pack_b32_f16 v25, v60, v59
	v_mad_co_u64_u32 v[59:60], null, s8, v27, 0
	s_delay_alu instid0(VALU_DEP_4) | instskip(SKIP_3) | instid1(VALU_DEP_3)
	v_lshlrev_b64_e32 v[50:51], 2, v[50:51]
	v_mov_b32_e32 v5, v58
	v_lshlrev_b64_e32 v[54:55], 2, v[55:56]
	v_sub_f16_e32 v96, v68, v69
	v_mad_co_u64_u32 v[28:29], null, s9, v29, v[5:6]
	v_mad_co_u64_u32 v[29:30], null, s8, v26, 0
	v_add_co_u32 v50, vcc_lo, v2, v50
	v_mov_b32_e32 v5, v60
	s_wait_alu 0xfffd
	v_add_co_ci_u32_e32 v51, vcc_lo, v4, v51, vcc_lo
	v_mov_b32_e32 v58, v28
	v_lshlrev_b64_e32 v[52:53], 2, v[52:53]
	v_mad_co_u64_u32 v[60:61], null, s9, v27, v[5:6]
	v_mov_b32_e32 v5, v30
	v_pack_b32_f16 v27, v98, v97
	v_pack_b32_f16 v61, v96, v91
	v_add_co_u32 v52, vcc_lo, v2, v52
	s_wait_alu 0xfffd
	v_add_co_ci_u32_e32 v53, vcc_lo, v4, v53, vcc_lo
	v_add_co_u32 v54, vcc_lo, v2, v54
	s_clause 0x1
	global_store_b32 v[50:51], v25, off
	global_store_b32 v[52:53], v67, off
	v_mad_co_u64_u32 v[50:51], null, s8, v22, 0
	s_wait_alu 0xfffd
	v_add_co_ci_u32_e32 v55, vcc_lo, v4, v55, vcc_lo
	v_mad_co_u64_u32 v[25:26], null, s9, v26, v[5:6]
	v_lshlrev_b64_e32 v[52:53], 2, v[59:60]
	global_store_b32 v[54:55], v27, off
	v_lshlrev_b64_e32 v[27:28], 2, v[57:58]
	v_mov_b32_e32 v5, v51
	v_mad_co_u64_u32 v[54:55], null, s8, v19, 0
	v_mov_b32_e32 v30, v25
	v_pack_b32_f16 v25, v95, v90
	v_add_co_u32 v26, vcc_lo, v2, v27
	v_mad_co_u64_u32 v[56:57], null, s9, v22, v[5:6]
	s_wait_alu 0xfffd
	v_add_co_ci_u32_e32 v27, vcc_lo, v4, v28, vcc_lo
	v_lshlrev_b64_e32 v[28:29], 2, v[29:30]
	v_mad_co_u64_u32 v[57:58], null, s8, v24, 0
	v_add_co_u32 v52, vcc_lo, v2, v52
	v_mov_b32_e32 v5, v55
	s_wait_alu 0xfffd
	v_add_co_ci_u32_e32 v53, vcc_lo, v4, v53, vcc_lo
	v_add_co_u32 v28, vcc_lo, v2, v28
	s_wait_alu 0xfffd
	v_add_co_ci_u32_e32 v29, vcc_lo, v4, v29, vcc_lo
	v_mad_co_u64_u32 v[59:60], null, s9, v19, v[5:6]
	v_pack_b32_f16 v19, v93, v89
	v_mov_b32_e32 v51, v56
	v_mov_b32_e32 v5, v58
	s_clause 0x1
	global_store_b32 v[26:27], v61, off
	global_store_b32 v[52:53], v25, off
	v_mad_co_u64_u32 v[52:53], null, s8, v20, 0
	global_store_b32 v[28:29], v19, off
	v_lshlrev_b64_e32 v[25:26], 2, v[50:51]
	v_mad_co_u64_u32 v[27:28], null, s9, v24, v[5:6]
	v_mad_co_u64_u32 v[28:29], null, s8, v23, 0
	v_mov_b32_e32 v55, v59
	s_delay_alu instid0(VALU_DEP_4)
	v_add_co_u32 v24, vcc_lo, v2, v25
	s_wait_alu 0xfffd
	v_add_co_ci_u32_e32 v25, vcc_lo, v4, v26, vcc_lo
	v_mov_b32_e32 v58, v27
	v_mad_co_u64_u32 v[26:27], null, s8, v21, 0
	v_mov_b32_e32 v5, v29
	v_lshlrev_b64_e32 v[50:51], 2, v[54:55]
	s_delay_alu instid0(VALU_DEP_4)
	v_lshlrev_b64_e32 v[29:30], 2, v[57:58]
	v_pack_b32_f16 v19, v74, v64
	v_pack_b32_f16 v59, v70, v87
	v_mad_co_u64_u32 v[22:23], null, s9, v23, v[5:6]
	v_mov_b32_e32 v5, v27
	v_add_co_u32 v50, vcc_lo, v2, v50
	s_wait_alu 0xfffd
	v_add_co_ci_u32_e32 v51, vcc_lo, v4, v51, vcc_lo
	s_delay_alu instid0(VALU_DEP_3)
	v_mad_co_u64_u32 v[56:57], null, s9, v21, v[5:6]
	v_mov_b32_e32 v5, v53
	v_add_co_u32 v54, vcc_lo, v2, v29
	s_clause 0x1
	global_store_b32 v[24:25], v19, off
	global_store_b32 v[50:51], v59, off
	v_mad_co_u64_u32 v[23:24], null, s8, v16, 0
	s_wait_alu 0xfffd
	v_add_co_ci_u32_e32 v55, vcc_lo, v4, v30, vcc_lo
	v_pack_b32_f16 v21, v88, v82
	v_mov_b32_e32 v29, v22
	v_mov_b32_e32 v27, v56
	v_mad_co_u64_u32 v[19:20], null, s9, v20, v[5:6]
	global_store_b32 v[54:55], v21, off
	v_lshlrev_b64_e32 v[21:22], 2, v[28:29]
	v_lshlrev_b64_e32 v[25:26], 2, v[26:27]
	v_mad_co_u64_u32 v[27:28], null, s8, v14, 0
	v_mov_b32_e32 v5, v24
	v_mov_b32_e32 v53, v19
	v_add_co_u32 v20, vcc_lo, v2, v21
	s_wait_alu 0xfffd
	v_add_co_ci_u32_e32 v21, vcc_lo, v4, v22, vcc_lo
	v_mad_co_u64_u32 v[50:51], null, s9, v16, v[5:6]
	v_lshlrev_b64_e32 v[29:30], 2, v[52:53]
	v_mov_b32_e32 v5, v28
	v_mad_co_u64_u32 v[51:52], null, s8, v18, 0
	v_add_co_u32 v25, vcc_lo, v2, v25
	s_wait_alu 0xfffd
	v_add_co_ci_u32_e32 v26, vcc_lo, v4, v26, vcc_lo
	v_mad_co_u64_u32 v[53:54], null, s9, v14, v[5:6]
	v_add_co_u32 v28, vcc_lo, v2, v29
	v_pack_b32_f16 v22, v85, v65
	s_wait_alu 0xfffd
	v_add_co_ci_u32_e32 v29, vcc_lo, v4, v30, vcc_lo
	v_pack_b32_f16 v14, v83, v79
	v_mov_b32_e32 v5, v52
	v_pack_b32_f16 v19, v86, v80
	v_mov_b32_e32 v24, v50
	s_clause 0x2
	global_store_b32 v[20:21], v22, off
	global_store_b32 v[25:26], v19, off
	;; [unrolled: 1-line block ×3, first 2 shown]
	v_mov_b32_e32 v28, v53
	v_mad_co_u64_u32 v[21:22], null, s9, v18, v[5:6]
	v_lshlrev_b64_e32 v[19:20], 2, v[23:24]
	v_mad_co_u64_u32 v[24:25], null, s8, v17, 0
	s_delay_alu instid0(VALU_DEP_4) | instskip(SKIP_1) | instid1(VALU_DEP_4)
	v_lshlrev_b64_e32 v[22:23], 2, v[27:28]
	v_mad_co_u64_u32 v[26:27], null, s8, v15, 0
	v_add_co_u32 v18, vcc_lo, v2, v19
	v_mov_b32_e32 v52, v21
	s_wait_alu 0xfffd
	v_add_co_ci_u32_e32 v19, vcc_lo, v4, v20, vcc_lo
	v_add_co_u32 v20, vcc_lo, v2, v22
	s_wait_alu 0xfffd
	v_add_co_ci_u32_e32 v21, vcc_lo, v4, v23, vcc_lo
	v_lshlrev_b64_e32 v[22:23], 2, v[51:52]
	v_mov_b32_e32 v5, v25
	v_pack_b32_f16 v30, v94, v92
	v_mad_co_u64_u32 v[28:29], null, s8, v13, 0
	v_pack_b32_f16 v50, v76, v62
	s_delay_alu instid0(VALU_DEP_4)
	v_mad_co_u64_u32 v[16:17], null, s9, v17, v[5:6]
	v_add_co_u32 v22, vcc_lo, v2, v22
	v_mov_b32_e32 v5, v27
	s_wait_alu 0xfffd
	v_add_co_ci_u32_e32 v23, vcc_lo, v4, v23, vcc_lo
	v_pack_b32_f16 v17, v73, v84
	s_clause 0x2
	global_store_b32 v[18:19], v30, off
	global_store_b32 v[20:21], v50, off
	;; [unrolled: 1-line block ×3, first 2 shown]
	v_mad_co_u64_u32 v[14:15], null, s9, v15, v[5:6]
	v_mad_co_u64_u32 v[17:18], null, s8, v10, 0
	v_mov_b32_e32 v5, v29
	v_mov_b32_e32 v25, v16
	v_pack_b32_f16 v30, v75, v66
	v_mov_b32_e32 v27, v14
	s_delay_alu instid0(VALU_DEP_4) | instskip(SKIP_2) | instid1(VALU_DEP_4)
	v_mad_co_u64_u32 v[13:14], null, s9, v13, v[5:6]
	v_mov_b32_e32 v5, v18
	v_lshlrev_b64_e32 v[15:16], 2, v[24:25]
	v_lshlrev_b64_e32 v[18:19], 2, v[26:27]
	s_delay_alu instid0(VALU_DEP_3) | instskip(SKIP_1) | instid1(VALU_DEP_4)
	v_mad_co_u64_u32 v[20:21], null, s9, v10, v[5:6]
	v_mad_co_u64_u32 v[21:22], null, s8, v9, 0
	v_add_co_u32 v14, vcc_lo, v2, v15
	s_wait_alu 0xfffd
	v_add_co_ci_u32_e32 v15, vcc_lo, v4, v16, vcc_lo
	v_mov_b32_e32 v29, v13
	v_add_co_u32 v23, vcc_lo, v2, v18
	s_wait_alu 0xfffd
	v_add_co_ci_u32_e32 v24, vcc_lo, v4, v19, vcc_lo
	v_dual_mov_b32 v18, v20 :: v_dual_mov_b32 v5, v22
	v_mad_co_u64_u32 v[19:20], null, s8, v12, 0
	v_lshlrev_b64_e32 v[25:26], 2, v[28:29]
	s_delay_alu instid0(VALU_DEP_3) | instskip(NEXT) | instid1(VALU_DEP_4)
	v_lshlrev_b64_e32 v[16:17], 2, v[17:18]
	v_mad_co_u64_u32 v[9:10], null, s9, v9, v[5:6]
	v_pack_b32_f16 v13, v81, v77
	v_pack_b32_f16 v18, v78, v63
	v_add_co_u32 v25, vcc_lo, v2, v25
	v_mov_b32_e32 v5, v20
	s_wait_alu 0xfffd
	v_add_co_ci_u32_e32 v26, vcc_lo, v4, v26, vcc_lo
	v_add_co_u32 v16, vcc_lo, v2, v16
	s_wait_alu 0xfffd
	v_add_co_ci_u32_e32 v17, vcc_lo, v4, v17, vcc_lo
	v_pack_b32_f16 v20, v47, v46
	v_mov_b32_e32 v22, v9
	v_mad_co_u64_u32 v[9:10], null, s9, v12, v[5:6]
	s_clause 0x3
	global_store_b32 v[14:15], v30, off
	global_store_b32 v[23:24], v13, off
	;; [unrolled: 1-line block ×4, first 2 shown]
	v_mad_co_u64_u32 v[14:15], null, s8, v11, 0
	v_lshlrev_b64_e32 v[12:13], 2, v[21:22]
	v_pack_b32_f16 v22, v72, v71
	v_mov_b32_e32 v20, v9
	v_mad_co_u64_u32 v[9:10], null, s8, v8, 0
	v_mov_b32_e32 v5, v15
	v_add_co_u32 v12, vcc_lo, v2, v12
	s_delay_alu instid0(VALU_DEP_4)
	v_lshlrev_b64_e32 v[15:16], 2, v[19:20]
	s_wait_alu 0xfffd
	v_add_co_ci_u32_e32 v13, vcc_lo, v4, v13, vcc_lo
	v_mad_co_u64_u32 v[17:18], null, s9, v11, v[5:6]
	v_mad_co_u64_u32 v[18:19], null, s8, v7, 0
	;; [unrolled: 1-line block ×3, first 2 shown]
	v_mul_hi_u32 v8, 0xf2b9d649, v6
	v_add_co_u32 v20, vcc_lo, v2, v15
	s_wait_alu 0xfffd
	v_add_co_ci_u32_e32 v21, vcc_lo, v4, v16, vcc_lo
	v_mov_b32_e32 v5, v19
	v_mov_b32_e32 v15, v17
	v_pack_b32_f16 v11, v49, v48
	v_lshrrev_b32_e32 v16, 9, v8
	global_store_b32 v[12:13], v22, off
	v_mad_co_u64_u32 v[7:8], null, s9, v7, v[5:6]
	global_store_b32 v[20:21], v11, off
	v_mad_u32_u24 v17, 0xa8c, v16, v6
	v_lshlrev_b64_e32 v[5:6], 2, v[14:15]
	v_lshlrev_b64_e32 v[8:9], 2, v[9:10]
	v_pack_b32_f16 v16, v41, v40
	s_delay_alu instid0(VALU_DEP_4) | instskip(SKIP_4) | instid1(VALU_DEP_3)
	v_mad_co_u64_u32 v[10:11], null, s8, v17, 0
	v_mov_b32_e32 v19, v7
	v_add_co_u32 v5, vcc_lo, v2, v5
	s_wait_alu 0xfffd
	v_add_co_ci_u32_e32 v6, vcc_lo, v4, v6, vcc_lo
	v_lshlrev_b64_e32 v[12:13], 2, v[18:19]
	v_mov_b32_e32 v7, v11
	v_add_co_u32 v8, vcc_lo, v2, v8
	s_wait_alu 0xfffd
	v_add_co_ci_u32_e32 v9, vcc_lo, v4, v9, vcc_lo
	s_delay_alu instid0(VALU_DEP_4) | instskip(NEXT) | instid1(VALU_DEP_3)
	v_add_co_u32 v12, vcc_lo, v2, v12
	v_mad_co_u64_u32 v[14:15], null, s9, v17, v[7:8]
	v_pack_b32_f16 v7, v45, v44
	s_wait_alu 0xfffd
	v_add_co_ci_u32_e32 v13, vcc_lo, v4, v13, vcc_lo
	v_pack_b32_f16 v15, v43, v42
	s_clause 0x1
	global_store_b32 v[5:6], v16, off
	global_store_b32 v[8:9], v7, off
	v_dual_mov_b32 v11, v14 :: v_dual_add_nc_u32 v14, 0x21c, v17
	global_store_b32 v[12:13], v15, off
	v_add_nc_u32_e32 v15, 0x438, v17
	v_add_nc_u32_e32 v18, 0x654, v17
	v_lshlrev_b64_e32 v[5:6], 2, v[10:11]
	v_mad_co_u64_u32 v[7:8], null, s8, v14, 0
	s_delay_alu instid0(VALU_DEP_4) | instskip(NEXT) | instid1(VALU_DEP_4)
	v_mad_co_u64_u32 v[9:10], null, s8, v15, 0
	v_mad_co_u64_u32 v[11:12], null, s8, v18, 0
	v_add_nc_u32_e32 v20, 0x870, v17
	v_add_co_u32 v5, vcc_lo, v2, v5
	v_add_nc_u32_e32 v17, 0xa8c, v17
	v_mad_co_u64_u32 v[13:14], null, s9, v14, v[8:9]
	v_mad_co_u64_u32 v[14:15], null, s9, v15, v[10:11]
	v_mov_b32_e32 v10, v12
	v_mad_co_u64_u32 v[15:16], null, s8, v20, 0
	s_wait_alu 0xfffd
	v_add_co_ci_u32_e32 v6, vcc_lo, v4, v6, vcc_lo
	v_pack_b32_f16 v19, v32, v31
	v_mov_b32_e32 v8, v13
	v_mad_co_u64_u32 v[12:13], null, s9, v18, v[10:11]
	v_mov_b32_e32 v10, v14
	v_mad_co_u64_u32 v[13:14], null, s8, v17, 0
	global_store_b32 v[5:6], v19, off
	v_lshlrev_b64_e32 v[5:6], 2, v[7:8]
	v_mov_b32_e32 v7, v16
	v_lshlrev_b64_e32 v[9:10], 2, v[9:10]
	v_lshlrev_b64_e32 v[11:12], 2, v[11:12]
	v_pack_b32_f16 v19, v39, v38
	s_delay_alu instid0(VALU_DEP_4) | instskip(SKIP_4) | instid1(VALU_DEP_3)
	v_mad_co_u64_u32 v[7:8], null, s9, v20, v[7:8]
	v_mov_b32_e32 v8, v14
	v_add_co_u32 v5, vcc_lo, v2, v5
	s_wait_alu 0xfffd
	v_add_co_ci_u32_e32 v6, vcc_lo, v4, v6, vcc_lo
	v_mad_co_u64_u32 v[17:18], null, s9, v17, v[8:9]
	v_mov_b32_e32 v16, v7
	v_add_co_u32 v7, vcc_lo, v2, v9
	s_wait_alu 0xfffd
	v_add_co_ci_u32_e32 v8, vcc_lo, v4, v10, vcc_lo
	s_delay_alu instid0(VALU_DEP_3)
	v_lshlrev_b64_e32 v[9:10], 2, v[15:16]
	v_mov_b32_e32 v14, v17
	v_add_co_u32 v11, vcc_lo, v2, v11
	v_pack_b32_f16 v15, v1, v0
	s_wait_alu 0xfffd
	v_add_co_ci_u32_e32 v12, vcc_lo, v4, v12, vcc_lo
	v_lshlrev_b64_e32 v[0:1], 2, v[13:14]
	v_add_co_u32 v9, vcc_lo, v2, v9
	v_pack_b32_f16 v18, v37, v36
	s_wait_alu 0xfffd
	v_add_co_ci_u32_e32 v10, vcc_lo, v4, v10, vcc_lo
	s_delay_alu instid0(VALU_DEP_4)
	v_add_co_u32 v0, vcc_lo, v2, v0
	v_pack_b32_f16 v13, v35, v34
	s_wait_alu 0xfffd
	v_add_co_ci_u32_e32 v1, vcc_lo, v4, v1, vcc_lo
	v_pack_b32_f16 v2, v33, v3
	s_clause 0x4
	global_store_b32 v[5:6], v19, off
	global_store_b32 v[7:8], v18, off
	global_store_b32 v[11:12], v15, off
	global_store_b32 v[9:10], v13, off
	global_store_b32 v[0:1], v2, off
.LBB0_15:
	s_nop 0
	s_sendmsg sendmsg(MSG_DEALLOC_VGPRS)
	s_endpgm
	.section	.rodata,"a",@progbits
	.p2align	6, 0x0
	.amdhsa_kernel fft_rtc_back_len3240_factors_3_3_10_6_6_wgs_108_tpt_108_halfLds_half_ip_CI_sbrr_dirReg
		.amdhsa_group_segment_fixed_size 0
		.amdhsa_private_segment_fixed_size 0
		.amdhsa_kernarg_size 88
		.amdhsa_user_sgpr_count 2
		.amdhsa_user_sgpr_dispatch_ptr 0
		.amdhsa_user_sgpr_queue_ptr 0
		.amdhsa_user_sgpr_kernarg_segment_ptr 1
		.amdhsa_user_sgpr_dispatch_id 0
		.amdhsa_user_sgpr_private_segment_size 0
		.amdhsa_wavefront_size32 1
		.amdhsa_uses_dynamic_stack 0
		.amdhsa_enable_private_segment 0
		.amdhsa_system_sgpr_workgroup_id_x 1
		.amdhsa_system_sgpr_workgroup_id_y 0
		.amdhsa_system_sgpr_workgroup_id_z 0
		.amdhsa_system_sgpr_workgroup_info 0
		.amdhsa_system_vgpr_workitem_id 0
		.amdhsa_next_free_vgpr 141
		.amdhsa_next_free_sgpr 35
		.amdhsa_reserve_vcc 1
		.amdhsa_float_round_mode_32 0
		.amdhsa_float_round_mode_16_64 0
		.amdhsa_float_denorm_mode_32 3
		.amdhsa_float_denorm_mode_16_64 3
		.amdhsa_fp16_overflow 0
		.amdhsa_workgroup_processor_mode 1
		.amdhsa_memory_ordered 1
		.amdhsa_forward_progress 0
		.amdhsa_round_robin_scheduling 0
		.amdhsa_exception_fp_ieee_invalid_op 0
		.amdhsa_exception_fp_denorm_src 0
		.amdhsa_exception_fp_ieee_div_zero 0
		.amdhsa_exception_fp_ieee_overflow 0
		.amdhsa_exception_fp_ieee_underflow 0
		.amdhsa_exception_fp_ieee_inexact 0
		.amdhsa_exception_int_div_zero 0
	.end_amdhsa_kernel
	.text
.Lfunc_end0:
	.size	fft_rtc_back_len3240_factors_3_3_10_6_6_wgs_108_tpt_108_halfLds_half_ip_CI_sbrr_dirReg, .Lfunc_end0-fft_rtc_back_len3240_factors_3_3_10_6_6_wgs_108_tpt_108_halfLds_half_ip_CI_sbrr_dirReg
                                        ; -- End function
	.section	.AMDGPU.csdata,"",@progbits
; Kernel info:
; codeLenInByte = 21972
; NumSgprs: 37
; NumVgprs: 141
; ScratchSize: 0
; MemoryBound: 0
; FloatMode: 240
; IeeeMode: 1
; LDSByteSize: 0 bytes/workgroup (compile time only)
; SGPRBlocks: 4
; VGPRBlocks: 17
; NumSGPRsForWavesPerEU: 37
; NumVGPRsForWavesPerEU: 141
; Occupancy: 10
; WaveLimiterHint : 1
; COMPUTE_PGM_RSRC2:SCRATCH_EN: 0
; COMPUTE_PGM_RSRC2:USER_SGPR: 2
; COMPUTE_PGM_RSRC2:TRAP_HANDLER: 0
; COMPUTE_PGM_RSRC2:TGID_X_EN: 1
; COMPUTE_PGM_RSRC2:TGID_Y_EN: 0
; COMPUTE_PGM_RSRC2:TGID_Z_EN: 0
; COMPUTE_PGM_RSRC2:TIDIG_COMP_CNT: 0
	.text
	.p2alignl 7, 3214868480
	.fill 96, 4, 3214868480
	.type	__hip_cuid_9e6d97b3dc69374c,@object ; @__hip_cuid_9e6d97b3dc69374c
	.section	.bss,"aw",@nobits
	.globl	__hip_cuid_9e6d97b3dc69374c
__hip_cuid_9e6d97b3dc69374c:
	.byte	0                               ; 0x0
	.size	__hip_cuid_9e6d97b3dc69374c, 1

	.ident	"AMD clang version 19.0.0git (https://github.com/RadeonOpenCompute/llvm-project roc-6.4.0 25133 c7fe45cf4b819c5991fe208aaa96edf142730f1d)"
	.section	".note.GNU-stack","",@progbits
	.addrsig
	.addrsig_sym __hip_cuid_9e6d97b3dc69374c
	.amdgpu_metadata
---
amdhsa.kernels:
  - .args:
      - .actual_access:  read_only
        .address_space:  global
        .offset:         0
        .size:           8
        .value_kind:     global_buffer
      - .offset:         8
        .size:           8
        .value_kind:     by_value
      - .actual_access:  read_only
        .address_space:  global
        .offset:         16
        .size:           8
        .value_kind:     global_buffer
      - .actual_access:  read_only
        .address_space:  global
        .offset:         24
        .size:           8
        .value_kind:     global_buffer
      - .offset:         32
        .size:           8
        .value_kind:     by_value
      - .actual_access:  read_only
        .address_space:  global
        .offset:         40
        .size:           8
        .value_kind:     global_buffer
      - .actual_access:  read_only
        .address_space:  global
        .offset:         48
        .size:           8
        .value_kind:     global_buffer
      - .offset:         56
        .size:           4
        .value_kind:     by_value
      - .actual_access:  read_only
        .address_space:  global
        .offset:         64
        .size:           8
        .value_kind:     global_buffer
      - .actual_access:  read_only
        .address_space:  global
        .offset:         72
        .size:           8
        .value_kind:     global_buffer
      - .address_space:  global
        .offset:         80
        .size:           8
        .value_kind:     global_buffer
    .group_segment_fixed_size: 0
    .kernarg_segment_align: 8
    .kernarg_segment_size: 88
    .language:       OpenCL C
    .language_version:
      - 2
      - 0
    .max_flat_workgroup_size: 108
    .name:           fft_rtc_back_len3240_factors_3_3_10_6_6_wgs_108_tpt_108_halfLds_half_ip_CI_sbrr_dirReg
    .private_segment_fixed_size: 0
    .sgpr_count:     37
    .sgpr_spill_count: 0
    .symbol:         fft_rtc_back_len3240_factors_3_3_10_6_6_wgs_108_tpt_108_halfLds_half_ip_CI_sbrr_dirReg.kd
    .uniform_work_group_size: 1
    .uses_dynamic_stack: false
    .vgpr_count:     141
    .vgpr_spill_count: 0
    .wavefront_size: 32
    .workgroup_processor_mode: 1
amdhsa.target:   amdgcn-amd-amdhsa--gfx1201
amdhsa.version:
  - 1
  - 2
...

	.end_amdgpu_metadata
